;; amdgpu-corpus repo=LLNL/RAJAPerf kind=compiled arch=gfx1100 opt=O3
	.text
	.amdgcn_target "amdgcn-amd-amdhsa--gfx1100"
	.amdhsa_code_object_version 6
	.section	.text._ZN8rajaperf4apps15MassVec3DPALoopILm64EEEvPdS2_S2_S2_,"axG",@progbits,_ZN8rajaperf4apps15MassVec3DPALoopILm64EEEvPdS2_S2_S2_,comdat
	.protected	_ZN8rajaperf4apps15MassVec3DPALoopILm64EEEvPdS2_S2_S2_ ; -- Begin function _ZN8rajaperf4apps15MassVec3DPALoopILm64EEEvPdS2_S2_S2_
	.globl	_ZN8rajaperf4apps15MassVec3DPALoopILm64EEEvPdS2_S2_S2_
	.p2align	8
	.type	_ZN8rajaperf4apps15MassVec3DPALoopILm64EEEvPdS2_S2_S2_,@function
_ZN8rajaperf4apps15MassVec3DPALoopILm64EEEvPdS2_S2_S2_: ; @_ZN8rajaperf4apps15MassVec3DPALoopILm64EEEvPdS2_S2_S2_
; %bb.0:
	v_bfe_u32 v8, v0, 20, 10
	v_bfe_u32 v10, v0, 10, 10
	s_mov_b32 s14, s15
	s_mov_b32 s2, exec_lo
	s_delay_alu instid0(VALU_DEP_2)
	v_cmpx_ne_u32_e32 0, v8
	s_xor_b32 s2, exec_lo, s2
; %bb.1:
	v_bfe_u32 v10, v0, 10, 10
; %bb.2:
	s_or_saveexec_b32 s15, s2
	s_load_b256 s[4:11], s[0:1], 0x0
	s_xor_b32 exec_lo, exec_lo, s15
	s_cbranch_execz .LBB0_10
; %bb.3:
	s_mov_b32 s16, exec_lo
	v_cmpx_gt_u32_e32 3, v10
	s_cbranch_execz .LBB0_9
; %bb.4:
	s_load_b32 s3, s[0:1], 0x2c
	v_and_b32_e32 v1, 0x3ff, v0
	v_mov_b32_e32 v11, 0
	v_lshlrev_b32_e32 v5, 3, v10
	s_add_u32 s12, s0, 32
	s_addc_u32 s13, s1, 0
	v_lshlrev_b32_e32 v4, 3, v1
	v_dual_mov_b32 v2, v11 :: v_dual_lshlrev_b32 v3, 5, v10
	v_mul_u32_u24_e32 v6, 24, v1
	v_cmp_gt_u32_e32 vcc_lo, 4, v1
	s_delay_alu instid0(VALU_DEP_3) | instskip(NEXT) | instid1(VALU_DEP_1)
	v_add_co_u32 v9, s2, v3, v4
	v_add_co_ci_u32_e64 v12, null, 0, 0, s2
	v_add3_u32 v7, v3, v4, 0x460
	s_waitcnt lgkmcnt(0)
	s_delay_alu instid0(VALU_DEP_3)
	v_add_co_u32 v3, s2, s4, v9
	v_add3_u32 v9, v6, v5, 0x400
	v_dual_mov_b32 v5, v10 :: v_dual_mov_b32 v6, v11
	v_add_co_ci_u32_e64 v4, s2, s5, v12, s2
	s_lshr_b32 s4, s3, 16
	s_mov_b32 s5, 0
	s_lshl_b32 s17, s4, 5
	s_lshl_b32 s18, s4, 3
	s_branch .LBB0_6
.LBB0_5:                                ;   in Loop: Header=BB0_6 Depth=1
	s_or_b32 exec_lo, exec_lo, s3
	v_add_co_u32 v5, s2, v5, s4
	s_delay_alu instid0(VALU_DEP_1) | instskip(SKIP_1) | instid1(VALU_DEP_1)
	v_add_co_ci_u32_e64 v6, s2, 0, v6, s2
	v_add_co_u32 v3, s3, v3, s17
	v_add_co_ci_u32_e64 v4, s3, 0, v4, s3
	s_delay_alu instid0(VALU_DEP_3) | instskip(SKIP_2) | instid1(VALU_DEP_3)
	v_cmp_lt_u64_e64 s2, 2, v[5:6]
	v_add_nc_u32_e32 v7, s17, v7
	v_add_nc_u32_e32 v9, s18, v9
	s_or_b32 s5, s2, s5
	s_delay_alu instid0(SALU_CYCLE_1)
	s_and_not1_b32 exec_lo, exec_lo, s5
	s_cbranch_execz .LBB0_9
.LBB0_6:                                ; =>This Loop Header: Depth=1
                                        ;     Child Loop BB0_8 Depth 2
	s_and_saveexec_b32 s3, vcc_lo
	s_cbranch_execz .LBB0_5
; %bb.7:                                ;   in Loop: Header=BB0_6 Depth=1
	s_load_b32 s2, s[12:13], 0xc
	v_dual_mov_b32 v15, v9 :: v_dual_mov_b32 v16, v7
	v_dual_mov_b32 v12, v4 :: v_dual_mov_b32 v11, v3
	;; [unrolled: 1-line block ×3, first 2 shown]
	s_mov_b32 s22, 0
	s_waitcnt lgkmcnt(0)
	s_and_b32 s19, s2, 0xffff
	s_delay_alu instid0(SALU_CYCLE_1)
	s_lshl_b32 s20, s19, 3
	s_mul_i32 s21, s19, 24
	.p2align	6
.LBB0_8:                                ;   Parent Loop BB0_6 Depth=1
                                        ; =>  This Inner Loop Header: Depth=2
	global_load_b64 v[17:18], v[11:12], off
	v_add_co_u32 v13, s2, v13, s19
	s_delay_alu instid0(VALU_DEP_1) | instskip(SKIP_1) | instid1(VALU_DEP_1)
	v_add_co_ci_u32_e64 v14, s2, 0, v14, s2
	v_add_co_u32 v11, s2, v11, s20
	v_add_co_ci_u32_e64 v12, s2, 0, v12, s2
	s_delay_alu instid0(VALU_DEP_3)
	v_cmp_lt_u64_e64 s2, 3, v[13:14]
	s_waitcnt vmcnt(0)
	ds_store_b64 v15, v[17:18]
	ds_store_b64 v16, v[17:18]
	v_add_nc_u32_e32 v16, s20, v16
	v_add_nc_u32_e32 v15, s21, v15
	s_or_b32 s22, s2, s22
	s_delay_alu instid0(SALU_CYCLE_1)
	s_and_not1_b32 exec_lo, exec_lo, s22
	s_cbranch_execnz .LBB0_8
	s_branch .LBB0_5
.LBB0_9:
	s_or_b32 exec_lo, exec_lo, s16
.LBB0_10:
	s_delay_alu instid0(SALU_CYCLE_1)
	s_or_b32 exec_lo, exec_lo, s15
	v_mul_hi_u32_u24_e32 v2, 0x48, v8
	v_mul_u32_u24_e32 v1, 0x48, v8
	v_dual_mov_b32 v9, 0 :: v_dual_and_b32 v12, 0x3ff, v0
	v_lshlrev_b32_e32 v16, 7, v8
	s_mov_b32 s15, 0
	s_delay_alu instid0(VALU_DEP_3) | instskip(NEXT) | instid1(VALU_DEP_3)
	v_mad_u64_u32 v[3:4], null, 0x288, s14, v[1:2]
	v_dual_mov_b32 v11, v9 :: v_dual_lshlrev_b32 v2, 3, v12
	s_add_u32 s12, s0, 32
	s_addc_u32 s13, s1, 0
	s_lshl_b64 s[14:15], s[14:15], 9
	v_lshlrev_b32_e32 v7, 5, v10
	s_delay_alu instid0(VALU_DEP_3) | instskip(SKIP_1) | instid1(VALU_DEP_3)
	v_mad_u64_u32 v[0:1], null, v10, 24, v[3:4]
	v_mul_lo_u32 v3, v10, 24
	v_dual_mov_b32 v13, v9 :: v_dual_add_nc_u32 v36, v7, v2
	v_mad_u32_u24 v32, 0x60, v8, v2
	v_cmp_gt_u32_e32 vcc_lo, 3, v8
	v_cmp_gt_u32_e64 s2, 4, v8
	s_waitcnt lgkmcnt(0)
	v_add_co_u32 v4, s5, v0, v2
	v_add_nc_u32_e32 v6, v3, v2
	v_add_co_ci_u32_e64 v5, s5, 0, v1, s5
	s_delay_alu instid0(VALU_DEP_3) | instskip(SKIP_1) | instid1(VALU_DEP_3)
	v_add_co_u32 v14, s5, s8, v4
	v_lshlrev_b64 v[0:1], 5, v[10:11]
	v_add_co_ci_u32_e64 v15, s5, s9, v5, s5
	v_add_co_u32 v17, s5, s14, v16
	s_delay_alu instid0(VALU_DEP_1) | instskip(SKIP_1) | instid1(VALU_DEP_3)
	v_add_co_ci_u32_e64 v18, null, s15, 0, s5
	v_mad_u32_u24 v33, 0x48, v8, v6
	v_add_co_u32 v0, s5, v17, v0
	s_delay_alu instid0(VALU_DEP_1) | instskip(SKIP_1) | instid1(VALU_DEP_3)
	v_add_co_ci_u32_e64 v1, s5, v18, v1, s5
	v_add_nc_u32_e32 v37, v36, v16
	v_add_co_u32 v0, s5, v0, v2
	s_delay_alu instid0(VALU_DEP_1) | instskip(SKIP_1) | instid1(VALU_DEP_3)
	v_add_co_ci_u32_e64 v1, s5, 0, v1, s5
	v_cmp_gt_u32_e64 s3, 3, v10
	v_add_co_u32 v16, s5, s6, v0
	s_delay_alu instid0(VALU_DEP_1)
	v_add_co_ci_u32_e64 v17, s5, s7, v1, s5
	v_add_co_u32 v18, s5, s10, v4
	v_cmp_gt_u32_e64 s4, 3, v12
	v_cmp_gt_u32_e64 s0, 4, v12
	;; [unrolled: 1-line block ×3, first 2 shown]
	v_add3_u32 v34, v32, v7, 0x200
	v_mad_u32_u24 v35, v12, 24, 0x400
	v_add_nc_u32_e32 v38, 0x200, v32
	v_add_nc_u32_e32 v39, 0x200, v37
	;; [unrolled: 1-line block ×3, first 2 shown]
	v_lshl_add_u32 v41, v12, 5, 0x460
	v_add_nc_u32_e32 v42, 0x200, v33
	v_add_co_ci_u32_e64 v19, s5, s11, v5, s5
	v_add_nc_u32_e32 v43, 0x200, v6
	s_mov_b64 s[8:9], 0
	s_branch .LBB0_12
.LBB0_11:                               ;   in Loop: Header=BB0_12 Depth=1
	s_or_b32 exec_lo, exec_lo, s7
	v_add_co_u32 v14, s5, 0xd8, v14
	s_delay_alu instid0(VALU_DEP_1)
	v_add_co_ci_u32_e64 v15, s5, 0, v15, s5
	v_add_co_u32 v18, s5, 0xd8, v18
	s_add_u32 s8, s8, 1
	v_add_co_ci_u32_e64 v19, s5, 0, v19, s5
	s_addc_u32 s9, s9, 0
	s_waitcnt_vscnt null, 0x0
	s_cmp_eq_u64 s[8:9], 3
	s_barrier
	buffer_gl0_inv
	s_cbranch_scc1 .LBB0_75
.LBB0_12:                               ; =>This Loop Header: Depth=1
                                        ;     Child Loop BB0_15 Depth 2
                                        ;       Child Loop BB0_18 Depth 3
                                        ;         Child Loop BB0_20 Depth 4
                                        ;     Child Loop BB0_24 Depth 2
                                        ;       Child Loop BB0_27 Depth 3
                                        ;         Child Loop BB0_29 Depth 4
	;; [unrolled: 3-line block ×7, first 2 shown]
	s_and_saveexec_b32 s7, vcc_lo
	s_cbranch_execz .LBB0_21
; %bb.13:                               ;   in Loop: Header=BB0_12 Depth=1
	s_load_b32 s5, s[12:13], 0x10
	v_mov_b32_e32 v0, v14
	v_dual_mov_b32 v2, v8 :: v_dual_mov_b32 v3, v9
	v_dual_mov_b32 v24, v33 :: v_dual_mov_b32 v1, v15
	s_mov_b32 s14, 0
	s_waitcnt lgkmcnt(0)
	s_and_b32 s10, s5, 0xffff
	s_delay_alu instid0(SALU_CYCLE_1)
	s_mul_i32 s11, s10, 0x48
	s_branch .LBB0_15
.LBB0_14:                               ;   in Loop: Header=BB0_15 Depth=2
	s_set_inst_prefetch_distance 0x2
	s_or_b32 exec_lo, exec_lo, s15
	v_add_co_u32 v2, s5, v2, s10
	s_delay_alu instid0(VALU_DEP_1) | instskip(SKIP_1) | instid1(VALU_DEP_1)
	v_add_co_ci_u32_e64 v3, s5, 0, v3, s5
	v_add_co_u32 v0, s6, v0, s11
	v_add_co_ci_u32_e64 v1, s6, 0, v1, s6
	s_delay_alu instid0(VALU_DEP_3) | instskip(SKIP_1) | instid1(VALU_DEP_2)
	v_cmp_lt_u64_e64 s5, 2, v[2:3]
	v_add_nc_u32_e32 v24, s11, v24
	s_or_b32 s14, s5, s14
	s_delay_alu instid0(SALU_CYCLE_1)
	s_and_not1_b32 exec_lo, exec_lo, s14
	s_cbranch_execz .LBB0_21
.LBB0_15:                               ;   Parent Loop BB0_12 Depth=1
                                        ; =>  This Loop Header: Depth=2
                                        ;       Child Loop BB0_18 Depth 3
                                        ;         Child Loop BB0_20 Depth 4
	s_and_saveexec_b32 s15, s3
	s_cbranch_execz .LBB0_14
; %bb.16:                               ;   in Loop: Header=BB0_15 Depth=2
	s_load_b32 s5, s[12:13], 0xc
	v_dual_mov_b32 v25, v24 :: v_dual_mov_b32 v6, v10
	v_dual_mov_b32 v5, v1 :: v_dual_mov_b32 v4, v0
	v_mov_b32_e32 v7, v11
	s_mov_b32 s18, 0
	s_waitcnt lgkmcnt(0)
	s_lshr_b32 s16, s5, 16
	s_delay_alu instid0(SALU_CYCLE_1)
	s_mul_i32 s17, s16, 24
	s_set_inst_prefetch_distance 0x1
	s_branch .LBB0_18
	.p2align	6
.LBB0_17:                               ;   in Loop: Header=BB0_18 Depth=3
	s_or_b32 exec_lo, exec_lo, s19
	v_add_co_u32 v6, s5, v6, s16
	s_delay_alu instid0(VALU_DEP_1) | instskip(SKIP_1) | instid1(VALU_DEP_1)
	v_add_co_ci_u32_e64 v7, s5, 0, v7, s5
	v_add_co_u32 v4, s6, v4, s17
	v_add_co_ci_u32_e64 v5, s6, 0, v5, s6
	s_delay_alu instid0(VALU_DEP_3) | instskip(SKIP_1) | instid1(VALU_DEP_2)
	v_cmp_lt_u64_e64 s5, 2, v[6:7]
	v_add_nc_u32_e32 v25, s17, v25
	s_or_b32 s18, s5, s18
	s_delay_alu instid0(SALU_CYCLE_1)
	s_and_not1_b32 exec_lo, exec_lo, s18
	s_cbranch_execz .LBB0_14
.LBB0_18:                               ;   Parent Loop BB0_12 Depth=1
                                        ;     Parent Loop BB0_15 Depth=2
                                        ; =>    This Loop Header: Depth=3
                                        ;         Child Loop BB0_20 Depth 4
	s_and_saveexec_b32 s19, s4
	s_cbranch_execz .LBB0_17
; %bb.19:                               ;   in Loop: Header=BB0_18 Depth=3
	s_load_b32 s5, s[12:13], 0xc
	v_mov_b32_e32 v26, v25
	v_dual_mov_b32 v21, v5 :: v_dual_mov_b32 v20, v4
	v_dual_mov_b32 v23, v13 :: v_dual_mov_b32 v22, v12
	s_mov_b32 s22, 0
	s_waitcnt lgkmcnt(0)
	s_and_b32 s20, s5, 0xffff
	s_delay_alu instid0(SALU_CYCLE_1)
	s_lshl_b32 s21, s20, 3
	.p2align	6
.LBB0_20:                               ;   Parent Loop BB0_12 Depth=1
                                        ;     Parent Loop BB0_15 Depth=2
                                        ;       Parent Loop BB0_18 Depth=3
                                        ; =>      This Inner Loop Header: Depth=4
	global_load_b64 v[27:28], v[20:21], off
	v_add_co_u32 v22, s5, v22, s20
	s_delay_alu instid0(VALU_DEP_1) | instskip(SKIP_1) | instid1(VALU_DEP_1)
	v_add_co_ci_u32_e64 v23, s5, 0, v23, s5
	v_add_co_u32 v20, s5, v20, s21
	v_add_co_ci_u32_e64 v21, s5, 0, v21, s5
	s_delay_alu instid0(VALU_DEP_3) | instskip(NEXT) | instid1(VALU_DEP_1)
	v_cmp_lt_u64_e64 s6, 2, v[22:23]
	s_or_b32 s22, s6, s22
	s_waitcnt vmcnt(0)
	ds_store_b64 v26, v[27:28]
	v_add_nc_u32_e32 v26, s21, v26
	s_and_not1_b32 exec_lo, exec_lo, s22
	s_cbranch_execnz .LBB0_20
	s_branch .LBB0_17
.LBB0_21:                               ;   in Loop: Header=BB0_12 Depth=1
	s_or_b32 exec_lo, exec_lo, s7
	s_waitcnt lgkmcnt(0)
	s_barrier
	buffer_gl0_inv
	s_and_saveexec_b32 s6, vcc_lo
	s_cbranch_execz .LBB0_30
; %bb.22:                               ;   in Loop: Header=BB0_12 Depth=1
	s_load_b32 s5, s[12:13], 0x10
	v_mov_b32_e32 v4, v8
	v_dual_mov_b32 v24, v34 :: v_dual_mov_b32 v5, v9
	s_mov_b32 s11, 0
	s_waitcnt lgkmcnt(0)
	s_and_b32 s7, s5, 0xffff
	s_delay_alu instid0(SALU_CYCLE_1)
	s_mul_i32 s10, s7, 0x60
	s_branch .LBB0_24
.LBB0_23:                               ;   in Loop: Header=BB0_24 Depth=2
	s_or_b32 exec_lo, exec_lo, s14
	v_add_co_u32 v4, s5, v4, s7
	s_delay_alu instid0(VALU_DEP_1) | instskip(SKIP_1) | instid1(VALU_DEP_2)
	v_add_co_ci_u32_e64 v5, s5, 0, v5, s5
	v_add_nc_u32_e32 v24, s10, v24
	v_cmp_lt_u64_e64 s5, 2, v[4:5]
	s_delay_alu instid0(VALU_DEP_1) | instskip(NEXT) | instid1(SALU_CYCLE_1)
	s_or_b32 s11, s5, s11
	s_and_not1_b32 exec_lo, exec_lo, s11
	s_cbranch_execz .LBB0_30
.LBB0_24:                               ;   Parent Loop BB0_12 Depth=1
                                        ; =>  This Loop Header: Depth=2
                                        ;       Child Loop BB0_27 Depth 3
                                        ;         Child Loop BB0_29 Depth 4
	s_and_saveexec_b32 s14, s3
	s_cbranch_execz .LBB0_23
; %bb.25:                               ;   in Loop: Header=BB0_24 Depth=2
	s_load_b32 s5, s[12:13], 0xc
	v_dual_mov_b32 v25, v24 :: v_dual_mov_b32 v6, v10
	v_mov_b32_e32 v7, v11
	s_mov_b32 s17, 0
	s_waitcnt lgkmcnt(0)
	s_lshr_b32 s15, s5, 16
	s_delay_alu instid0(SALU_CYCLE_1)
	s_lshl_b32 s16, s15, 5
	s_branch .LBB0_27
.LBB0_26:                               ;   in Loop: Header=BB0_27 Depth=3
	s_or_b32 exec_lo, exec_lo, s18
	v_add_co_u32 v6, s5, v6, s15
	s_delay_alu instid0(VALU_DEP_1) | instskip(SKIP_1) | instid1(VALU_DEP_2)
	v_add_co_ci_u32_e64 v7, s5, 0, v7, s5
	v_add_nc_u32_e32 v25, s16, v25
	v_cmp_lt_u64_e64 s5, 2, v[6:7]
	s_delay_alu instid0(VALU_DEP_1) | instskip(NEXT) | instid1(SALU_CYCLE_1)
	s_or_b32 s17, s5, s17
	s_and_not1_b32 exec_lo, exec_lo, s17
	s_cbranch_execz .LBB0_23
.LBB0_27:                               ;   Parent Loop BB0_12 Depth=1
                                        ;     Parent Loop BB0_24 Depth=2
                                        ; =>    This Loop Header: Depth=3
                                        ;         Child Loop BB0_29 Depth 4
	s_and_saveexec_b32 s18, s0
	s_cbranch_execz .LBB0_26
; %bb.28:                               ;   in Loop: Header=BB0_27 Depth=3
	v_mul_lo_u32 v0, v6, 24
	s_load_b32 s5, s[12:13], 0xc
	v_dual_mov_b32 v26, v35 :: v_dual_mov_b32 v27, v25
	v_dual_mov_b32 v23, v13 :: v_dual_mov_b32 v22, v12
	s_mov_b32 s22, 0
	s_delay_alu instid0(VALU_DEP_3) | instskip(SKIP_4) | instid1(SALU_CYCLE_1)
	v_mad_u64_u32 v[20:21], null, 0x48, v4, v[0:1]
	ds_load_2addr_b64 v[0:3], v20 offset1:1
	ds_load_b64 v[20:21], v20 offset:16
	s_waitcnt lgkmcnt(0)
	s_and_b32 s19, s5, 0xffff
	s_lshl_b32 s20, s19, 3
	s_mul_i32 s21, s19, 24
	.p2align	6
.LBB0_29:                               ;   Parent Loop BB0_12 Depth=1
                                        ;     Parent Loop BB0_24 Depth=2
                                        ;       Parent Loop BB0_27 Depth=3
                                        ; =>      This Inner Loop Header: Depth=4
	ds_load_2addr_b64 v[28:31], v26 offset1:1
	ds_load_b64 v[44:45], v26 offset:16
	v_add_co_u32 v22, s5, v22, s19
	s_delay_alu instid0(VALU_DEP_1) | instskip(SKIP_1) | instid1(VALU_DEP_2)
	v_add_co_ci_u32_e64 v23, s5, 0, v23, s5
	v_add_nc_u32_e32 v26, s21, v26
	v_cmp_lt_u64_e64 s5, 3, v[22:23]
	s_delay_alu instid0(VALU_DEP_1) | instskip(SKIP_2) | instid1(VALU_DEP_1)
	s_or_b32 s22, s5, s22
	s_waitcnt lgkmcnt(1)
	v_fma_f64 v[28:29], v[0:1], v[28:29], 0
	v_fma_f64 v[28:29], v[2:3], v[30:31], v[28:29]
	s_waitcnt lgkmcnt(0)
	s_delay_alu instid0(VALU_DEP_1)
	v_fma_f64 v[28:29], v[20:21], v[44:45], v[28:29]
	ds_store_b64 v27, v[28:29]
	v_add_nc_u32_e32 v27, s20, v27
	s_and_not1_b32 exec_lo, exec_lo, s22
	s_cbranch_execnz .LBB0_29
	s_branch .LBB0_26
.LBB0_30:                               ;   in Loop: Header=BB0_12 Depth=1
	s_or_b32 exec_lo, exec_lo, s6
	s_waitcnt lgkmcnt(0)
	s_barrier
	buffer_gl0_inv
	s_and_saveexec_b32 s6, vcc_lo
	s_cbranch_execz .LBB0_39
; %bb.31:                               ;   in Loop: Header=BB0_12 Depth=1
	s_load_b32 s5, s[12:13], 0x10
	v_dual_mov_b32 v24, v38 :: v_dual_mov_b32 v25, v37
	v_dual_mov_b32 v4, v8 :: v_dual_mov_b32 v5, v9
	s_mov_b32 s14, 0
	s_waitcnt lgkmcnt(0)
	s_and_b32 s7, s5, 0xffff
	s_delay_alu instid0(SALU_CYCLE_1)
	s_lshl_b32 s10, s7, 7
	s_mul_i32 s11, s7, 0x60
	s_branch .LBB0_33
.LBB0_32:                               ;   in Loop: Header=BB0_33 Depth=2
	s_or_b32 exec_lo, exec_lo, s15
	v_add_co_u32 v4, s5, v4, s7
	s_delay_alu instid0(VALU_DEP_1) | instskip(SKIP_2) | instid1(VALU_DEP_3)
	v_add_co_ci_u32_e64 v5, s5, 0, v5, s5
	v_add_nc_u32_e32 v25, s10, v25
	v_add_nc_u32_e32 v24, s11, v24
	v_cmp_lt_u64_e64 s5, 2, v[4:5]
	s_delay_alu instid0(VALU_DEP_1) | instskip(NEXT) | instid1(SALU_CYCLE_1)
	s_or_b32 s14, s5, s14
	s_and_not1_b32 exec_lo, exec_lo, s14
	s_cbranch_execz .LBB0_39
.LBB0_33:                               ;   Parent Loop BB0_12 Depth=1
                                        ; =>  This Loop Header: Depth=2
                                        ;       Child Loop BB0_36 Depth 3
                                        ;         Child Loop BB0_38 Depth 4
	s_and_saveexec_b32 s15, s1
	s_cbranch_execz .LBB0_32
; %bb.34:                               ;   in Loop: Header=BB0_33 Depth=2
	s_load_b32 s5, s[12:13], 0xc
	v_mov_b32_e32 v6, v10
	v_dual_mov_b32 v26, v25 :: v_dual_mov_b32 v7, v11
	s_mov_b32 s18, 0
	s_waitcnt lgkmcnt(0)
	s_lshr_b32 s16, s5, 16
	s_delay_alu instid0(SALU_CYCLE_1)
	s_lshl_b32 s17, s16, 5
	s_branch .LBB0_36
.LBB0_35:                               ;   in Loop: Header=BB0_36 Depth=3
	s_or_b32 exec_lo, exec_lo, s19
	v_add_co_u32 v6, s5, v6, s16
	s_delay_alu instid0(VALU_DEP_1) | instskip(SKIP_1) | instid1(VALU_DEP_2)
	v_add_co_ci_u32_e64 v7, s5, 0, v7, s5
	v_add_nc_u32_e32 v26, s17, v26
	v_cmp_lt_u64_e64 s5, 3, v[6:7]
	s_delay_alu instid0(VALU_DEP_1) | instskip(NEXT) | instid1(SALU_CYCLE_1)
	s_or_b32 s18, s5, s18
	s_and_not1_b32 exec_lo, exec_lo, s18
	s_cbranch_execz .LBB0_32
.LBB0_36:                               ;   Parent Loop BB0_12 Depth=1
                                        ;     Parent Loop BB0_33 Depth=2
                                        ; =>    This Loop Header: Depth=3
                                        ;         Child Loop BB0_38 Depth 4
	s_and_saveexec_b32 s19, s0
	s_cbranch_execz .LBB0_35
; %bb.37:                               ;   in Loop: Header=BB0_36 Depth=3
	v_mul_lo_u32 v20, v6, 24
	s_load_b32 s5, s[12:13], 0xc
	v_dual_mov_b32 v23, v13 :: v_dual_mov_b32 v22, v12
	s_mov_b32 s22, 0
	s_mov_b32 s23, 0
	ds_load_2addr_b64 v[0:3], v20 offset0:128 offset1:129
	ds_load_b64 v[20:21], v20 offset:1040
	s_waitcnt lgkmcnt(0)
	s_and_b32 s20, s5, 0xffff
	s_delay_alu instid0(SALU_CYCLE_1)
	s_lshl_b32 s21, s20, 3
	.p2align	6
.LBB0_38:                               ;   Parent Loop BB0_12 Depth=1
                                        ;     Parent Loop BB0_33 Depth=2
                                        ;       Parent Loop BB0_36 Depth=3
                                        ; =>      This Inner Loop Header: Depth=4
	v_add_nc_u32_e32 v31, s23, v24
	v_add_co_u32 v22, s5, v22, s20
	s_delay_alu instid0(VALU_DEP_1) | instskip(SKIP_4) | instid1(VALU_DEP_1)
	v_add_co_ci_u32_e64 v23, s5, 0, v23, s5
	ds_load_2addr_b64 v[27:30], v31 offset1:4
	v_cmp_lt_u64_e64 s5, 3, v[22:23]
	s_waitcnt lgkmcnt(0)
	v_fma_f64 v[27:28], v[27:28], v[0:1], 0
	v_fma_f64 v[27:28], v[29:30], v[2:3], v[27:28]
	ds_load_b64 v[29:30], v31 offset:64
	s_waitcnt lgkmcnt(0)
	v_fma_f64 v[27:28], v[29:30], v[20:21], v[27:28]
	v_add_nc_u32_e32 v29, s23, v26
	s_add_i32 s23, s23, s21
	s_or_b32 s22, s5, s22
	ds_store_b64 v29, v[27:28]
	s_and_not1_b32 exec_lo, exec_lo, s22
	s_cbranch_execnz .LBB0_38
	s_branch .LBB0_35
.LBB0_39:                               ;   in Loop: Header=BB0_12 Depth=1
	s_or_b32 exec_lo, exec_lo, s6
	s_waitcnt lgkmcnt(0)
	s_barrier
	buffer_gl0_inv
	s_and_saveexec_b32 s7, s2
	s_cbranch_execz .LBB0_48
; %bb.40:                               ;   in Loop: Header=BB0_12 Depth=1
	s_load_b32 s5, s[12:13], 0x10
	v_dual_mov_b32 v31, v39 :: v_dual_mov_b32 v4, v16
	v_dual_mov_b32 v5, v17 :: v_dual_mov_b32 v6, v8
	v_mov_b32_e32 v7, v9
	s_mov_b32 s14, 0
	s_waitcnt lgkmcnt(0)
	s_and_b32 s10, s5, 0xffff
	s_delay_alu instid0(SALU_CYCLE_1)
	s_lshl_b32 s11, s10, 7
	s_branch .LBB0_42
.LBB0_41:                               ;   in Loop: Header=BB0_42 Depth=2
	s_or_b32 exec_lo, exec_lo, s15
	v_add_co_u32 v6, s5, v6, s10
	s_delay_alu instid0(VALU_DEP_1) | instskip(SKIP_1) | instid1(VALU_DEP_1)
	v_add_co_ci_u32_e64 v7, s5, 0, v7, s5
	v_add_co_u32 v4, s6, v4, s11
	v_add_co_ci_u32_e64 v5, s6, 0, v5, s6
	s_delay_alu instid0(VALU_DEP_3) | instskip(SKIP_1) | instid1(VALU_DEP_2)
	v_cmp_lt_u64_e64 s5, 3, v[6:7]
	v_add_nc_u32_e32 v31, s11, v31
	s_or_b32 s14, s5, s14
	s_delay_alu instid0(SALU_CYCLE_1)
	s_and_not1_b32 exec_lo, exec_lo, s14
	s_cbranch_execz .LBB0_48
.LBB0_42:                               ;   Parent Loop BB0_12 Depth=1
                                        ; =>  This Loop Header: Depth=2
                                        ;       Child Loop BB0_45 Depth 3
                                        ;         Child Loop BB0_47 Depth 4
	s_and_saveexec_b32 s15, s1
	s_cbranch_execz .LBB0_41
; %bb.43:                               ;   in Loop: Header=BB0_42 Depth=2
	s_load_b32 s5, s[12:13], 0xc
	v_mad_u64_u32 v[20:21], null, v6, 24, 0x400
	v_dual_mov_b32 v44, v36 :: v_dual_mov_b32 v45, v31
	v_dual_mov_b32 v22, v5 :: v_dual_mov_b32 v21, v4
	;; [unrolled: 1-line block ×3, first 2 shown]
	s_mov_b32 s18, 0
	s_waitcnt lgkmcnt(0)
	s_lshr_b32 s16, s5, 16
	s_delay_alu instid0(SALU_CYCLE_1)
	s_lshl_b32 s17, s16, 5
	s_branch .LBB0_45
.LBB0_44:                               ;   in Loop: Header=BB0_45 Depth=3
	s_set_inst_prefetch_distance 0x2
	s_or_b32 exec_lo, exec_lo, s19
	v_add_co_u32 v23, s5, v23, s16
	s_delay_alu instid0(VALU_DEP_1) | instskip(SKIP_1) | instid1(VALU_DEP_1)
	v_add_co_ci_u32_e64 v24, s5, 0, v24, s5
	v_add_co_u32 v21, s6, v21, s17
	v_add_co_ci_u32_e64 v22, s6, 0, v22, s6
	s_delay_alu instid0(VALU_DEP_3) | instskip(SKIP_2) | instid1(VALU_DEP_3)
	v_cmp_lt_u64_e64 s5, 3, v[23:24]
	v_add_nc_u32_e32 v45, s17, v45
	v_add_nc_u32_e32 v44, s17, v44
	s_or_b32 s18, s5, s18
	s_delay_alu instid0(SALU_CYCLE_1)
	s_and_not1_b32 exec_lo, exec_lo, s18
	s_cbranch_execz .LBB0_41
.LBB0_45:                               ;   Parent Loop BB0_12 Depth=1
                                        ;     Parent Loop BB0_42 Depth=2
                                        ; =>    This Loop Header: Depth=3
                                        ;         Child Loop BB0_47 Depth 4
	s_and_saveexec_b32 s19, s0
	s_cbranch_execz .LBB0_44
; %bb.46:                               ;   in Loop: Header=BB0_45 Depth=3
	s_load_b32 s5, s[12:13], 0xc
	ds_load_2addr_b64 v[0:3], v20 offset1:1
	ds_load_b64 v[25:26], v20 offset:16
	v_dual_mov_b32 v28, v22 :: v_dual_mov_b32 v27, v21
	v_dual_mov_b32 v30, v13 :: v_dual_mov_b32 v29, v12
	s_mov_b32 s21, 0
	s_mov_b32 s23, 0
	s_waitcnt lgkmcnt(0)
	s_and_b32 s20, s5, 0xffff
	s_delay_alu instid0(SALU_CYCLE_1)
	s_lshl_b32 s22, s20, 3
	s_set_inst_prefetch_distance 0x1
	.p2align	6
.LBB0_47:                               ;   Parent Loop BB0_12 Depth=1
                                        ;     Parent Loop BB0_42 Depth=2
                                        ;       Parent Loop BB0_45 Depth=3
                                        ; =>      This Inner Loop Header: Depth=4
	global_load_b64 v[50:51], v[27:28], off
	v_add_nc_u32_e32 v52, s23, v44
	v_add_co_u32 v29, s5, v29, s20
	s_delay_alu instid0(VALU_DEP_1)
	v_add_co_ci_u32_e64 v30, s5, 0, v30, s5
	ds_load_2addr_b64 v[46:49], v52 offset1:16
	v_add_co_u32 v27, s6, v27, s22
	v_cmp_lt_u64_e64 s5, 3, v[29:30]
	v_add_co_ci_u32_e64 v28, s6, 0, v28, s6
	s_waitcnt lgkmcnt(0)
	v_fma_f64 v[46:47], v[46:47], v[0:1], 0
	s_delay_alu instid0(VALU_DEP_1)
	v_fma_f64 v[46:47], v[48:49], v[2:3], v[46:47]
	ds_load_b64 v[48:49], v52 offset:256
	s_waitcnt lgkmcnt(0)
	v_fma_f64 v[46:47], v[48:49], v[25:26], v[46:47]
	v_add_nc_u32_e32 v48, s23, v45
	s_add_i32 s23, s23, s22
	s_or_b32 s21, s5, s21
	s_waitcnt vmcnt(0)
	s_delay_alu instid0(VALU_DEP_2)
	v_mul_f64 v[46:47], v[46:47], v[50:51]
	ds_store_b64 v48, v[46:47]
	s_and_not1_b32 exec_lo, exec_lo, s21
	s_cbranch_execnz .LBB0_47
	s_branch .LBB0_44
.LBB0_48:                               ;   in Loop: Header=BB0_12 Depth=1
	s_or_b32 exec_lo, exec_lo, s7
	s_waitcnt lgkmcnt(0)
	s_barrier
	buffer_gl0_inv
	s_and_saveexec_b32 s6, s2
	s_cbranch_execz .LBB0_57
; %bb.49:                               ;   in Loop: Header=BB0_12 Depth=1
	s_load_b32 s5, s[12:13], 0x10
	v_dual_mov_b32 v26, v40 :: v_dual_mov_b32 v21, v9
	v_mov_b32_e32 v20, v8
	s_mov_b32 s11, 0
	s_waitcnt lgkmcnt(0)
	s_and_b32 s7, s5, 0xffff
	s_delay_alu instid0(SALU_CYCLE_1)
	s_mul_i32 s10, s7, 0x60
	s_branch .LBB0_51
.LBB0_50:                               ;   in Loop: Header=BB0_51 Depth=2
	s_or_b32 exec_lo, exec_lo, s14
	v_add_co_u32 v20, s5, v20, s7
	s_delay_alu instid0(VALU_DEP_1) | instskip(SKIP_1) | instid1(VALU_DEP_2)
	v_add_co_ci_u32_e64 v21, s5, 0, v21, s5
	v_add_nc_u32_e32 v26, s10, v26
	v_cmp_lt_u64_e64 s5, 3, v[20:21]
	s_delay_alu instid0(VALU_DEP_1) | instskip(NEXT) | instid1(SALU_CYCLE_1)
	s_or_b32 s11, s5, s11
	s_and_not1_b32 exec_lo, exec_lo, s11
	s_cbranch_execz .LBB0_57
.LBB0_51:                               ;   Parent Loop BB0_12 Depth=1
                                        ; =>  This Loop Header: Depth=2
                                        ;       Child Loop BB0_54 Depth 3
                                        ;         Child Loop BB0_56 Depth 4
	s_and_saveexec_b32 s14, s1
	s_cbranch_execz .LBB0_50
; %bb.52:                               ;   in Loop: Header=BB0_51 Depth=2
	s_load_b32 s5, s[12:13], 0xc
	v_mov_b32_e32 v27, v26
	v_dual_mov_b32 v23, v11 :: v_dual_mov_b32 v22, v10
	s_mov_b32 s17, 0
	s_waitcnt lgkmcnt(0)
	s_lshr_b32 s15, s5, 16
	s_delay_alu instid0(SALU_CYCLE_1)
	s_mul_i32 s16, s15, 24
	s_branch .LBB0_54
.LBB0_53:                               ;   in Loop: Header=BB0_54 Depth=3
	s_or_b32 exec_lo, exec_lo, s18
	v_add_co_u32 v22, s5, v22, s15
	s_delay_alu instid0(VALU_DEP_1) | instskip(SKIP_1) | instid1(VALU_DEP_2)
	v_add_co_ci_u32_e64 v23, s5, 0, v23, s5
	v_add_nc_u32_e32 v27, s16, v27
	v_cmp_lt_u64_e64 s5, 3, v[22:23]
	s_delay_alu instid0(VALU_DEP_1) | instskip(NEXT) | instid1(SALU_CYCLE_1)
	s_or_b32 s17, s5, s17
	s_and_not1_b32 exec_lo, exec_lo, s17
	s_cbranch_execz .LBB0_50
.LBB0_54:                               ;   Parent Loop BB0_12 Depth=1
                                        ;     Parent Loop BB0_51 Depth=2
                                        ; =>    This Loop Header: Depth=3
                                        ;         Child Loop BB0_56 Depth 4
	s_and_saveexec_b32 s18, s4
	s_cbranch_execz .LBB0_53
; %bb.55:                               ;   in Loop: Header=BB0_54 Depth=3
	v_dual_mov_b32 v29, v27 :: v_dual_lshlrev_b32 v0, 5, v22
	s_load_b32 s5, s[12:13], 0xc
	v_mov_b32_e32 v28, v41
	v_dual_mov_b32 v25, v13 :: v_dual_mov_b32 v24, v12
	s_delay_alu instid0(VALU_DEP_3)
	v_lshl_add_u32 v4, v20, 7, v0
	s_mov_b32 s22, 0
	ds_load_b128 v[0:3], v4 offset:512
	ds_load_b128 v[4:7], v4 offset:528
	s_waitcnt lgkmcnt(0)
	s_and_b32 s19, s5, 0xffff
	s_delay_alu instid0(SALU_CYCLE_1)
	s_lshl_b32 s20, s19, 3
	s_lshl_b32 s21, s19, 5
	.p2align	6
.LBB0_56:                               ;   Parent Loop BB0_12 Depth=1
                                        ;     Parent Loop BB0_51 Depth=2
                                        ;       Parent Loop BB0_54 Depth=3
                                        ; =>      This Inner Loop Header: Depth=4
	ds_load_b128 v[44:47], v28
	ds_load_b128 v[48:51], v28 offset:16
	v_add_co_u32 v24, s5, v24, s19
	s_delay_alu instid0(VALU_DEP_1) | instskip(SKIP_1) | instid1(VALU_DEP_2)
	v_add_co_ci_u32_e64 v25, s5, 0, v25, s5
	v_add_nc_u32_e32 v28, s21, v28
	v_cmp_lt_u64_e64 s5, 2, v[24:25]
	s_delay_alu instid0(VALU_DEP_1) | instskip(SKIP_2) | instid1(VALU_DEP_1)
	s_or_b32 s22, s5, s22
	s_waitcnt lgkmcnt(1)
	v_fma_f64 v[30:31], v[0:1], v[44:45], 0
	v_fma_f64 v[30:31], v[2:3], v[46:47], v[30:31]
	s_waitcnt lgkmcnt(0)
	s_delay_alu instid0(VALU_DEP_1) | instskip(NEXT) | instid1(VALU_DEP_1)
	v_fma_f64 v[30:31], v[4:5], v[48:49], v[30:31]
	v_fma_f64 v[30:31], v[6:7], v[50:51], v[30:31]
	ds_store_b64 v29, v[30:31]
	v_add_nc_u32_e32 v29, s20, v29
	s_and_not1_b32 exec_lo, exec_lo, s22
	s_cbranch_execnz .LBB0_56
	s_branch .LBB0_53
.LBB0_57:                               ;   in Loop: Header=BB0_12 Depth=1
	s_or_b32 exec_lo, exec_lo, s6
	s_waitcnt lgkmcnt(0)
	s_barrier
	buffer_gl0_inv
	s_and_saveexec_b32 s6, s2
	s_cbranch_execz .LBB0_66
; %bb.58:                               ;   in Loop: Header=BB0_12 Depth=1
	s_load_b32 s5, s[12:13], 0x10
	v_dual_mov_b32 v26, v32 :: v_dual_mov_b32 v27, v42
	v_dual_mov_b32 v21, v9 :: v_dual_mov_b32 v20, v8
	s_mov_b32 s14, 0
	s_waitcnt lgkmcnt(0)
	s_and_b32 s7, s5, 0xffff
	s_delay_alu instid0(SALU_CYCLE_1)
	s_mul_i32 s10, s7, 0x48
	s_mul_i32 s11, s7, 0x60
	s_branch .LBB0_60
.LBB0_59:                               ;   in Loop: Header=BB0_60 Depth=2
	s_or_b32 exec_lo, exec_lo, s15
	v_add_co_u32 v20, s5, v20, s7
	s_delay_alu instid0(VALU_DEP_1) | instskip(SKIP_2) | instid1(VALU_DEP_3)
	v_add_co_ci_u32_e64 v21, s5, 0, v21, s5
	v_add_nc_u32_e32 v27, s10, v27
	v_add_nc_u32_e32 v26, s11, v26
	v_cmp_lt_u64_e64 s5, 3, v[20:21]
	s_delay_alu instid0(VALU_DEP_1) | instskip(NEXT) | instid1(SALU_CYCLE_1)
	s_or_b32 s14, s5, s14
	s_and_not1_b32 exec_lo, exec_lo, s14
	s_cbranch_execz .LBB0_66
.LBB0_60:                               ;   Parent Loop BB0_12 Depth=1
                                        ; =>  This Loop Header: Depth=2
                                        ;       Child Loop BB0_63 Depth 3
                                        ;         Child Loop BB0_65 Depth 4
	s_and_saveexec_b32 s15, s3
	s_cbranch_execz .LBB0_59
; %bb.61:                               ;   in Loop: Header=BB0_60 Depth=2
	s_load_b32 s5, s[12:13], 0xc
	v_mov_b32_e32 v28, v27
	v_dual_mov_b32 v23, v11 :: v_dual_mov_b32 v22, v10
	s_mov_b32 s18, 0
	s_waitcnt lgkmcnt(0)
	s_lshr_b32 s16, s5, 16
	s_delay_alu instid0(SALU_CYCLE_1)
	s_mul_i32 s17, s16, 24
	s_branch .LBB0_63
.LBB0_62:                               ;   in Loop: Header=BB0_63 Depth=3
	s_or_b32 exec_lo, exec_lo, s19
	v_add_co_u32 v22, s5, v22, s16
	s_delay_alu instid0(VALU_DEP_1) | instskip(SKIP_1) | instid1(VALU_DEP_2)
	v_add_co_ci_u32_e64 v23, s5, 0, v23, s5
	v_add_nc_u32_e32 v28, s17, v28
	v_cmp_lt_u64_e64 s5, 2, v[22:23]
	s_delay_alu instid0(VALU_DEP_1) | instskip(NEXT) | instid1(SALU_CYCLE_1)
	s_or_b32 s18, s5, s18
	s_and_not1_b32 exec_lo, exec_lo, s18
	s_cbranch_execz .LBB0_59
.LBB0_63:                               ;   Parent Loop BB0_12 Depth=1
                                        ;     Parent Loop BB0_60 Depth=2
                                        ; =>    This Loop Header: Depth=3
                                        ;         Child Loop BB0_65 Depth 4
	s_and_saveexec_b32 s19, s4
	s_cbranch_execz .LBB0_62
; %bb.64:                               ;   in Loop: Header=BB0_63 Depth=3
	v_dual_mov_b32 v25, v13 :: v_dual_lshlrev_b32 v4, 5, v22
	s_load_b32 s5, s[12:13], 0xc
	v_mov_b32_e32 v24, v12
	s_mov_b32 s22, 0
	ds_load_b128 v[0:3], v4 offset:1120
	ds_load_b128 v[4:7], v4 offset:1136
	s_mov_b32 s23, 0
	s_waitcnt lgkmcnt(0)
	s_and_b32 s20, s5, 0xffff
	s_delay_alu instid0(SALU_CYCLE_1)
	s_lshl_b32 s21, s20, 3
	.p2align	6
.LBB0_65:                               ;   Parent Loop BB0_12 Depth=1
                                        ;     Parent Loop BB0_60 Depth=2
                                        ;       Parent Loop BB0_63 Depth=3
                                        ; =>      This Inner Loop Header: Depth=4
	v_add_nc_u32_e32 v31, s23, v26
	v_add_co_u32 v24, s5, v24, s20
	s_delay_alu instid0(VALU_DEP_1) | instskip(SKIP_4) | instid1(VALU_DEP_1)
	v_add_co_ci_u32_e64 v25, s5, 0, v25, s5
	ds_load_2addr_b64 v[44:47], v31 offset1:3
	v_cmp_lt_u64_e64 s5, 2, v[24:25]
	s_waitcnt lgkmcnt(0)
	v_fma_f64 v[29:30], v[44:45], v[0:1], 0
	v_fma_f64 v[29:30], v[46:47], v[2:3], v[29:30]
	ds_load_2addr_b64 v[44:47], v31 offset0:6 offset1:9
	v_add_nc_u32_e32 v31, s23, v28
	s_add_i32 s23, s23, s21
	s_or_b32 s22, s5, s22
	s_waitcnt lgkmcnt(0)
	v_fma_f64 v[29:30], v[44:45], v[4:5], v[29:30]
	s_delay_alu instid0(VALU_DEP_1)
	v_fma_f64 v[29:30], v[46:47], v[6:7], v[29:30]
	ds_store_b64 v31, v[29:30]
	s_and_not1_b32 exec_lo, exec_lo, s22
	s_cbranch_execnz .LBB0_65
	s_branch .LBB0_62
.LBB0_66:                               ;   in Loop: Header=BB0_12 Depth=1
	s_or_b32 exec_lo, exec_lo, s6
	s_waitcnt lgkmcnt(0)
	s_barrier
	buffer_gl0_inv
	s_and_saveexec_b32 s7, vcc_lo
	s_cbranch_execz .LBB0_11
; %bb.67:                               ;   in Loop: Header=BB0_12 Depth=1
	s_load_b32 s5, s[12:13], 0x10
	v_dual_mov_b32 v21, v19 :: v_dual_mov_b32 v20, v18
	v_dual_mov_b32 v23, v9 :: v_dual_mov_b32 v22, v8
	s_mov_b32 s14, 0
	s_waitcnt lgkmcnt(0)
	s_and_b32 s10, s5, 0xffff
	s_delay_alu instid0(SALU_CYCLE_1)
	s_mul_i32 s11, s10, 0x48
	s_branch .LBB0_69
.LBB0_68:                               ;   in Loop: Header=BB0_69 Depth=2
	s_or_b32 exec_lo, exec_lo, s15
	v_add_co_u32 v22, s5, v22, s10
	s_delay_alu instid0(VALU_DEP_1) | instskip(SKIP_1) | instid1(VALU_DEP_1)
	v_add_co_ci_u32_e64 v23, s5, 0, v23, s5
	v_add_co_u32 v20, s6, v20, s11
	v_add_co_ci_u32_e64 v21, s6, 0, v21, s6
	s_delay_alu instid0(VALU_DEP_3) | instskip(NEXT) | instid1(VALU_DEP_1)
	v_cmp_lt_u64_e64 s5, 2, v[22:23]
	s_or_b32 s14, s5, s14
	s_delay_alu instid0(SALU_CYCLE_1)
	s_and_not1_b32 exec_lo, exec_lo, s14
	s_cbranch_execz .LBB0_11
.LBB0_69:                               ;   Parent Loop BB0_12 Depth=1
                                        ; =>  This Loop Header: Depth=2
                                        ;       Child Loop BB0_72 Depth 3
                                        ;         Child Loop BB0_74 Depth 4
	s_and_saveexec_b32 s15, s3
	s_cbranch_execz .LBB0_68
; %bb.70:                               ;   in Loop: Header=BB0_69 Depth=2
	s_load_b32 s5, s[12:13], 0xc
	v_mov_b32_e32 v25, v21
	v_dual_mov_b32 v27, v11 :: v_dual_mov_b32 v26, v10
	v_lshl_add_u32 v44, v22, 5, 0x460
	v_dual_mov_b32 v45, v43 :: v_dual_mov_b32 v24, v20
	s_mov_b32 s18, 0
	s_waitcnt lgkmcnt(0)
	s_lshr_b32 s16, s5, 16
	s_delay_alu instid0(SALU_CYCLE_1)
	s_mul_i32 s17, s16, 24
	s_branch .LBB0_72
.LBB0_71:                               ;   in Loop: Header=BB0_72 Depth=3
	s_or_b32 exec_lo, exec_lo, s19
	v_add_co_u32 v26, s5, v26, s16
	s_delay_alu instid0(VALU_DEP_1) | instskip(SKIP_1) | instid1(VALU_DEP_1)
	v_add_co_ci_u32_e64 v27, s5, 0, v27, s5
	v_add_co_u32 v24, s6, v24, s17
	v_add_co_ci_u32_e64 v25, s6, 0, v25, s6
	s_delay_alu instid0(VALU_DEP_3) | instskip(SKIP_1) | instid1(VALU_DEP_2)
	v_cmp_lt_u64_e64 s5, 2, v[26:27]
	v_add_nc_u32_e32 v45, s17, v45
	s_or_b32 s18, s5, s18
	s_delay_alu instid0(SALU_CYCLE_1)
	s_and_not1_b32 exec_lo, exec_lo, s18
	s_cbranch_execz .LBB0_68
.LBB0_72:                               ;   Parent Loop BB0_12 Depth=1
                                        ;     Parent Loop BB0_69 Depth=2
                                        ; =>    This Loop Header: Depth=3
                                        ;         Child Loop BB0_74 Depth 4
	s_and_saveexec_b32 s19, s4
	s_cbranch_execz .LBB0_71
; %bb.73:                               ;   in Loop: Header=BB0_72 Depth=3
	s_load_b32 s5, s[12:13], 0xc
	ds_load_b128 v[0:3], v44
	ds_load_b128 v[4:7], v44 offset:16
	v_mov_b32_e32 v46, v45
	v_dual_mov_b32 v29, v25 :: v_dual_mov_b32 v28, v24
	v_dual_mov_b32 v31, v13 :: v_dual_mov_b32 v30, v12
	s_mov_b32 s22, 0
	s_waitcnt lgkmcnt(0)
	s_and_b32 s20, s5, 0xffff
	s_delay_alu instid0(SALU_CYCLE_1)
	s_lshl_b32 s21, s20, 3
	.p2align	6
.LBB0_74:                               ;   Parent Loop BB0_12 Depth=1
                                        ;     Parent Loop BB0_69 Depth=2
                                        ;       Parent Loop BB0_72 Depth=3
                                        ; =>      This Inner Loop Header: Depth=4
	ds_load_2addr_b64 v[47:50], v46 offset1:9
	v_add_co_u32 v30, s5, v30, s20
	s_delay_alu instid0(VALU_DEP_1) | instskip(NEXT) | instid1(VALU_DEP_1)
	v_add_co_ci_u32_e64 v31, s5, 0, v31, s5
	v_cmp_lt_u64_e64 s5, 2, v[30:31]
	s_delay_alu instid0(VALU_DEP_1) | instskip(SKIP_2) | instid1(VALU_DEP_1)
	s_or_b32 s22, s5, s22
	s_waitcnt lgkmcnt(0)
	v_fma_f64 v[47:48], v[47:48], v[0:1], 0
	v_fma_f64 v[51:52], v[49:50], v[2:3], v[47:48]
	ds_load_2addr_b64 v[47:50], v46 offset0:18 offset1:27
	v_add_nc_u32_e32 v46, s21, v46
	s_waitcnt lgkmcnt(0)
	v_fma_f64 v[47:48], v[47:48], v[4:5], v[51:52]
	s_delay_alu instid0(VALU_DEP_1) | instskip(SKIP_2) | instid1(VALU_DEP_1)
	v_fma_f64 v[47:48], v[49:50], v[6:7], v[47:48]
	global_store_b64 v[28:29], v[47:48], off
	v_add_co_u32 v28, s6, v28, s21
	v_add_co_ci_u32_e64 v29, s6, 0, v29, s6
	s_and_not1_b32 exec_lo, exec_lo, s22
	s_cbranch_execnz .LBB0_74
	s_branch .LBB0_71
.LBB0_75:
	s_endpgm
	.section	.rodata,"a",@progbits
	.p2align	6, 0x0
	.amdhsa_kernel _ZN8rajaperf4apps15MassVec3DPALoopILm64EEEvPdS2_S2_S2_
		.amdhsa_group_segment_fixed_size 1216
		.amdhsa_private_segment_fixed_size 0
		.amdhsa_kernarg_size 288
		.amdhsa_user_sgpr_count 15
		.amdhsa_user_sgpr_dispatch_ptr 0
		.amdhsa_user_sgpr_queue_ptr 0
		.amdhsa_user_sgpr_kernarg_segment_ptr 1
		.amdhsa_user_sgpr_dispatch_id 0
		.amdhsa_user_sgpr_private_segment_size 0
		.amdhsa_wavefront_size32 1
		.amdhsa_uses_dynamic_stack 0
		.amdhsa_enable_private_segment 0
		.amdhsa_system_sgpr_workgroup_id_x 1
		.amdhsa_system_sgpr_workgroup_id_y 0
		.amdhsa_system_sgpr_workgroup_id_z 0
		.amdhsa_system_sgpr_workgroup_info 0
		.amdhsa_system_vgpr_workitem_id 2
		.amdhsa_next_free_vgpr 53
		.amdhsa_next_free_sgpr 24
		.amdhsa_reserve_vcc 1
		.amdhsa_float_round_mode_32 0
		.amdhsa_float_round_mode_16_64 0
		.amdhsa_float_denorm_mode_32 3
		.amdhsa_float_denorm_mode_16_64 3
		.amdhsa_dx10_clamp 1
		.amdhsa_ieee_mode 1
		.amdhsa_fp16_overflow 0
		.amdhsa_workgroup_processor_mode 1
		.amdhsa_memory_ordered 1
		.amdhsa_forward_progress 0
		.amdhsa_shared_vgpr_count 0
		.amdhsa_exception_fp_ieee_invalid_op 0
		.amdhsa_exception_fp_denorm_src 0
		.amdhsa_exception_fp_ieee_div_zero 0
		.amdhsa_exception_fp_ieee_overflow 0
		.amdhsa_exception_fp_ieee_underflow 0
		.amdhsa_exception_fp_ieee_inexact 0
		.amdhsa_exception_int_div_zero 0
	.end_amdhsa_kernel
	.section	.text._ZN8rajaperf4apps15MassVec3DPALoopILm64EEEvPdS2_S2_S2_,"axG",@progbits,_ZN8rajaperf4apps15MassVec3DPALoopILm64EEEvPdS2_S2_S2_,comdat
.Lfunc_end0:
	.size	_ZN8rajaperf4apps15MassVec3DPALoopILm64EEEvPdS2_S2_S2_, .Lfunc_end0-_ZN8rajaperf4apps15MassVec3DPALoopILm64EEEvPdS2_S2_S2_
                                        ; -- End function
	.section	.AMDGPU.csdata,"",@progbits
; Kernel info:
; codeLenInByte = 4240
; NumSgprs: 26
; NumVgprs: 53
; ScratchSize: 0
; MemoryBound: 0
; FloatMode: 240
; IeeeMode: 1
; LDSByteSize: 1216 bytes/workgroup (compile time only)
; SGPRBlocks: 3
; VGPRBlocks: 6
; NumSGPRsForWavesPerEU: 26
; NumVGPRsForWavesPerEU: 53
; Occupancy: 16
; WaveLimiterHint : 0
; COMPUTE_PGM_RSRC2:SCRATCH_EN: 0
; COMPUTE_PGM_RSRC2:USER_SGPR: 15
; COMPUTE_PGM_RSRC2:TRAP_HANDLER: 0
; COMPUTE_PGM_RSRC2:TGID_X_EN: 1
; COMPUTE_PGM_RSRC2:TGID_Y_EN: 0
; COMPUTE_PGM_RSRC2:TGID_Z_EN: 0
; COMPUTE_PGM_RSRC2:TIDIG_COMP_CNT: 2
	.section	.text._ZN4RAJA34launch_new_reduce_global_fcn_fixedIZN8rajaperf4apps11MASSVEC3DPA17runHipVariantImplILm64ELm0EEEvNS1_9VariantIDEEUlNS_14LaunchContextTINS_3hip33LaunchContextIndicesAndDimsPolicyINS7_14IndicesAndDimsILb0ELb0ELb0ELb0EEEEEEEE_Li64ENS_4expt15ForallParamPackIJEEEEEvT_T1_,"axG",@progbits,_ZN4RAJA34launch_new_reduce_global_fcn_fixedIZN8rajaperf4apps11MASSVEC3DPA17runHipVariantImplILm64ELm0EEEvNS1_9VariantIDEEUlNS_14LaunchContextTINS_3hip33LaunchContextIndicesAndDimsPolicyINS7_14IndicesAndDimsILb0ELb0ELb0ELb0EEEEEEEE_Li64ENS_4expt15ForallParamPackIJEEEEEvT_T1_,comdat
	.protected	_ZN4RAJA34launch_new_reduce_global_fcn_fixedIZN8rajaperf4apps11MASSVEC3DPA17runHipVariantImplILm64ELm0EEEvNS1_9VariantIDEEUlNS_14LaunchContextTINS_3hip33LaunchContextIndicesAndDimsPolicyINS7_14IndicesAndDimsILb0ELb0ELb0ELb0EEEEEEEE_Li64ENS_4expt15ForallParamPackIJEEEEEvT_T1_ ; -- Begin function _ZN4RAJA34launch_new_reduce_global_fcn_fixedIZN8rajaperf4apps11MASSVEC3DPA17runHipVariantImplILm64ELm0EEEvNS1_9VariantIDEEUlNS_14LaunchContextTINS_3hip33LaunchContextIndicesAndDimsPolicyINS7_14IndicesAndDimsILb0ELb0ELb0ELb0EEEEEEEE_Li64ENS_4expt15ForallParamPackIJEEEEEvT_T1_
	.globl	_ZN4RAJA34launch_new_reduce_global_fcn_fixedIZN8rajaperf4apps11MASSVEC3DPA17runHipVariantImplILm64ELm0EEEvNS1_9VariantIDEEUlNS_14LaunchContextTINS_3hip33LaunchContextIndicesAndDimsPolicyINS7_14IndicesAndDimsILb0ELb0ELb0ELb0EEEEEEEE_Li64ENS_4expt15ForallParamPackIJEEEEEvT_T1_
	.p2align	8
	.type	_ZN4RAJA34launch_new_reduce_global_fcn_fixedIZN8rajaperf4apps11MASSVEC3DPA17runHipVariantImplILm64ELm0EEEvNS1_9VariantIDEEUlNS_14LaunchContextTINS_3hip33LaunchContextIndicesAndDimsPolicyINS7_14IndicesAndDimsILb0ELb0ELb0ELb0EEEEEEEE_Li64ENS_4expt15ForallParamPackIJEEEEEvT_T1_,@function
_ZN4RAJA34launch_new_reduce_global_fcn_fixedIZN8rajaperf4apps11MASSVEC3DPA17runHipVariantImplILm64ELm0EEEvNS1_9VariantIDEEUlNS_14LaunchContextTINS_3hip33LaunchContextIndicesAndDimsPolicyINS7_14IndicesAndDimsILb0ELb0ELb0ELb0EEEEEEEE_Li64ENS_4expt15ForallParamPackIJEEEEEvT_T1_: ; @_ZN4RAJA34launch_new_reduce_global_fcn_fixedIZN8rajaperf4apps11MASSVEC3DPA17runHipVariantImplILm64ELm0EEEvNS1_9VariantIDEEUlNS_14LaunchContextTINS_3hip33LaunchContextIndicesAndDimsPolicyINS7_14IndicesAndDimsILb0ELb0ELb0ELb0EEEEEEEE_Li64ENS_4expt15ForallParamPackIJEEEEEvT_T1_
; %bb.0:
	s_load_b256 s[4:11], s[0:1], 0x0
	s_mov_b32 s2, s15
	s_mov_b32 s15, 0
	s_waitcnt lgkmcnt(0)
	v_cmp_le_i64_e64 s3, s[4:5], s[14:15]
	s_delay_alu instid0(VALU_DEP_1)
	s_and_b32 vcc_lo, exec_lo, s3
	s_cbranch_vccnz .LBB1_78
; %bb.1:
	s_clause 0x1
	s_load_b32 s3, s[0:1], 0x40
	s_load_b64 s[16:17], s[0:1], 0x20
	v_bfe_u32 v8, v0, 20, 10
	v_bfe_u32 v10, v0, 10, 10
	v_and_b32_e32 v12, 0x3ff, v0
	s_add_u32 s12, s0, 48
	s_addc_u32 s13, s1, 0
	s_mov_b32 s0, exec_lo
                                        ; implicit-def: $vgpr1_vgpr2
                                        ; implicit-def: $vgpr3_vgpr4
	s_waitcnt lgkmcnt(0)
	s_and_b32 s18, s3, 0xffff
	v_cmpx_ne_u32_e32 0, v8
	s_xor_b32 s0, exec_lo, s0
; %bb.2:
	v_dual_mov_b32 v11, 0 :: v_dual_and_b32 v12, 0x3ff, v0
	v_bfe_u32 v10, v0, 10, 10
	s_delay_alu instid0(VALU_DEP_2) | instskip(NEXT) | instid1(VALU_DEP_3)
	v_mov_b32_e32 v13, v11
	v_dual_mov_b32 v2, v11 :: v_dual_lshlrev_b32 v1, 3, v12
	s_delay_alu instid0(VALU_DEP_3)
	v_dual_mov_b32 v4, v11 :: v_dual_lshlrev_b32 v3, 5, v10
; %bb.3:
	s_or_saveexec_b32 s4, s0
	v_mov_b32_e32 v0, s18
	s_xor_b32 exec_lo, exec_lo, s4
	s_cbranch_execz .LBB1_13
; %bb.4:
	s_load_b32 s5, s[12:13], 0xc
	v_mov_b32_e32 v11, 0
	v_lshlrev_b32_e32 v3, 5, v10
	v_lshlrev_b32_e32 v1, 3, v12
	v_mul_u32_u24_e32 v7, 24, v12
	s_delay_alu instid0(VALU_DEP_4) | instskip(SKIP_1) | instid1(VALU_DEP_4)
	v_dual_mov_b32 v2, v11 :: v_dual_lshlrev_b32 v9, 3, v10
	v_mov_b32_e32 v4, v11
	v_add_co_u32 v5, s19, v3, v1
	s_delay_alu instid0(VALU_DEP_1) | instskip(SKIP_1) | instid1(VALU_DEP_3)
	v_add_co_ci_u32_e64 v6, null, 0, 0, s19
	v_cmp_gt_u32_e64 s0, 3, v10
	v_add_co_u32 v5, vcc_lo, s6, v5
	v_cmp_gt_u32_e64 s1, 4, v12
	v_mov_b32_e32 v13, v11
	v_add3_u32 v0, v3, v1, 0x460
	v_add_co_ci_u32_e32 v6, vcc_lo, s7, v6, vcc_lo
	v_add3_u32 v7, v7, v9, 0x400
	v_cmp_ne_u16_e64 s6, s3, 0
	s_waitcnt lgkmcnt(0)
	s_lshr_b32 s5, s5, 16
	s_delay_alu instid0(SALU_CYCLE_1)
	s_lshl_b32 s7, s5, 5
	s_lshl_b32 s19, s5, 3
	s_branch .LBB1_6
.LBB1_5:                                ;   in Loop: Header=BB1_6 Depth=1
	s_set_inst_prefetch_distance 0x2
	s_or_b32 exec_lo, exec_lo, s20
	s_delay_alu instid0(SALU_CYCLE_1)
	s_and_not1_b32 vcc_lo, exec_lo, s6
	s_cbranch_vccz .LBB1_12
.LBB1_6:                                ; =>This Loop Header: Depth=1
                                        ;     Child Loop BB1_9 Depth 2
                                        ;       Child Loop BB1_11 Depth 3
	s_and_saveexec_b32 s20, s0
	s_cbranch_execz .LBB1_5
; %bb.7:                                ;   in Loop: Header=BB1_6 Depth=1
	s_load_b32 s3, s[12:13], 0x0
	v_dual_mov_b32 v15, v6 :: v_dual_mov_b32 v14, v5
	v_dual_mov_b32 v17, v11 :: v_dual_mov_b32 v16, v10
	s_mov_b32 s21, 0
	v_dual_mov_b32 v24, v7 :: v_dual_mov_b32 v25, v0
	s_waitcnt lgkmcnt(0)
	s_cmp_lt_u32 s14, s3
	s_cselect_b32 s3, 12, 18
	s_delay_alu instid0(SALU_CYCLE_1) | instskip(SKIP_4) | instid1(VALU_DEP_1)
	s_add_u32 s22, s12, s3
	s_addc_u32 s23, s13, 0
	global_load_u16 v9, v11, s[22:23]
	s_waitcnt vmcnt(0)
	v_and_b32_e32 v9, 0xffff, v9
	v_mul_lo_u32 v23, v9, 24
	v_lshlrev_b32_e32 v22, 3, v9
	s_set_inst_prefetch_distance 0x1
	s_branch .LBB1_9
	.p2align	6
.LBB1_8:                                ;   in Loop: Header=BB1_9 Depth=2
	s_or_b32 exec_lo, exec_lo, s3
	v_add_co_u32 v16, vcc_lo, v16, s5
	v_add_co_ci_u32_e32 v17, vcc_lo, 0, v17, vcc_lo
	v_add_co_u32 v14, s3, v14, s7
	s_delay_alu instid0(VALU_DEP_1) | instskip(NEXT) | instid1(VALU_DEP_3)
	v_add_co_ci_u32_e64 v15, s3, 0, v15, s3
	v_cmp_lt_u64_e32 vcc_lo, 2, v[16:17]
	v_add_nc_u32_e32 v25, s7, v25
	v_add_nc_u32_e32 v24, s19, v24
	s_or_b32 s21, vcc_lo, s21
	s_delay_alu instid0(SALU_CYCLE_1)
	s_and_not1_b32 exec_lo, exec_lo, s21
	s_cbranch_execz .LBB1_5
.LBB1_9:                                ;   Parent Loop BB1_6 Depth=1
                                        ; =>  This Loop Header: Depth=2
                                        ;       Child Loop BB1_11 Depth 3
	s_and_saveexec_b32 s3, s1
	s_cbranch_execz .LBB1_8
; %bb.10:                               ;   in Loop: Header=BB1_9 Depth=2
	v_dual_mov_b32 v26, v24 :: v_dual_mov_b32 v27, v25
	v_dual_mov_b32 v19, v15 :: v_dual_mov_b32 v18, v14
	;; [unrolled: 1-line block ×3, first 2 shown]
	s_mov_b32 s22, 0
	.p2align	6
.LBB1_11:                               ;   Parent Loop BB1_6 Depth=1
                                        ;     Parent Loop BB1_9 Depth=2
                                        ; =>    This Inner Loop Header: Depth=3
	global_load_b64 v[28:29], v[18:19], off
	v_add_co_u32 v20, vcc_lo, v20, v9
	v_add_co_ci_u32_e32 v21, vcc_lo, 0, v21, vcc_lo
	v_add_co_u32 v18, vcc_lo, v18, v22
	v_add_co_ci_u32_e32 v19, vcc_lo, 0, v19, vcc_lo
	s_delay_alu instid0(VALU_DEP_3)
	v_cmp_lt_u64_e32 vcc_lo, 3, v[20:21]
	s_waitcnt vmcnt(0)
	ds_store_b64 v26, v[28:29]
	ds_store_b64 v27, v[28:29]
	v_add_nc_u32_e32 v27, v27, v22
	v_add_nc_u32_e32 v26, v26, v23
	s_or_b32 s22, vcc_lo, s22
	s_delay_alu instid0(SALU_CYCLE_1)
	s_and_not1_b32 exec_lo, exec_lo, s22
	s_cbranch_execnz .LBB1_11
	s_branch .LBB1_8
.LBB1_12:
	v_mov_b32_e32 v0, s18
.LBB1_13:
	s_or_b32 exec_lo, exec_lo, s4
	v_mul_hi_u32_u24_e32 v6, 0x48, v8
	v_mul_u32_u24_e32 v5, 0x48, v8
	v_mul_lo_u32 v7, v10, 24
	v_lshlrev_b32_e32 v19, 7, v8
	s_lshl_b64 s[6:7], s[14:15], 9
	v_dual_mov_b32 v9, 0 :: v_dual_lshlrev_b32 v18, 5, v10
	v_mad_u64_u32 v[14:15], null, 0x288, s14, v[5:6]
	v_lshlrev_b32_e32 v17, 3, v12
	v_mul_lo_u32 v33, 0x48, v0
	v_mul_lo_u32 v34, 0x60, v0
	v_lshlrev_b32_e32 v40, 7, v0
	v_cmp_gt_u32_e32 vcc_lo, 3, v8
	v_add_nc_u32_e32 v36, v18, v17
	v_mad_u64_u32 v[5:6], null, v10, 24, v[14:15]
	v_mad_u64_u32 v[14:15], null, v12, 24, 0x400
	v_add_nc_u32_e32 v21, v7, v17
	v_mad_u32_u24 v35, 0x60, v8, v17
	v_add_nc_u32_e32 v38, v36, v19
	v_cmp_gt_u32_e64 s0, 4, v8
	v_mad_u64_u32 v[15:16], null, v11, 24, v[6:7]
	v_add_co_u32 v6, s6, s6, v19
	s_delay_alu instid0(VALU_DEP_1) | instskip(SKIP_1) | instid1(VALU_DEP_1)
	v_add_co_ci_u32_e64 v20, null, s7, 0, s6
	v_add_co_u32 v5, s6, v5, v1
	v_add_co_ci_u32_e64 v22, s6, v15, v2, s6
	v_mad_u32_u24 v39, 0x48, v8, v21
	s_delay_alu instid0(VALU_DEP_3) | instskip(NEXT) | instid1(VALU_DEP_1)
	v_add_co_u32 v15, s6, s8, v5
	v_add_co_ci_u32_e64 v16, s6, s9, v22, s6
	v_add_co_u32 v3, s6, v6, v3
	s_delay_alu instid0(VALU_DEP_1) | instskip(SKIP_1) | instid1(VALU_DEP_3)
	v_add_co_ci_u32_e64 v4, s6, v20, v4, s6
	v_add3_u32 v37, v35, v18, 0x200
	v_add_co_u32 v0, s6, v3, v1
	s_delay_alu instid0(VALU_DEP_1) | instskip(SKIP_1) | instid1(VALU_DEP_3)
	v_add_co_ci_u32_e64 v1, s6, v4, v2, s6
	v_cmp_gt_u32_e64 s1, 3, v10
	v_add_co_u32 v17, s6, s10, v0
	s_delay_alu instid0(VALU_DEP_1)
	v_add_co_ci_u32_e64 v18, s6, s11, v1, s6
	v_add_co_u32 v19, s6, s16, v5
	v_cmp_gt_u32_e64 s3, 3, v12
	v_cmp_gt_u32_e64 s4, 4, v12
	;; [unrolled: 1-line block ×3, first 2 shown]
	v_add_nc_u32_e32 v41, 0x200, v35
	v_add_nc_u32_e32 v42, 0x200, v38
	;; [unrolled: 1-line block ×3, first 2 shown]
	v_lshl_add_u32 v44, v12, 5, 0x460
	v_add_nc_u32_e32 v45, 0x200, v39
	v_add_co_ci_u32_e64 v20, s6, s17, v22, s6
	v_add_nc_u32_e32 v46, 0x200, v21
	s_mul_i32 s10, s18, 0x48
	s_lshl_b32 s11, s18, 7
	s_mov_b64 s[8:9], 0
	s_branch .LBB1_15
.LBB1_14:                               ;   in Loop: Header=BB1_15 Depth=1
	s_or_b32 exec_lo, exec_lo, s15
	v_add_co_u32 v15, s6, 0xd8, v15
	s_delay_alu instid0(VALU_DEP_1)
	v_add_co_ci_u32_e64 v16, s6, 0, v16, s6
	v_add_co_u32 v19, s6, 0xd8, v19
	s_add_u32 s8, s8, 1
	v_add_co_ci_u32_e64 v20, s6, 0, v20, s6
	s_addc_u32 s9, s9, 0
	s_waitcnt_vscnt null, 0x0
	s_cmp_lg_u64 s[8:9], 3
	s_barrier
	buffer_gl0_inv
	s_cbranch_scc0 .LBB1_78
.LBB1_15:                               ; =>This Loop Header: Depth=1
                                        ;     Child Loop BB1_18 Depth 2
                                        ;       Child Loop BB1_21 Depth 3
                                        ;         Child Loop BB1_23 Depth 4
                                        ;     Child Loop BB1_27 Depth 2
                                        ;       Child Loop BB1_30 Depth 3
                                        ;         Child Loop BB1_32 Depth 4
	;; [unrolled: 3-line block ×7, first 2 shown]
	s_and_saveexec_b32 s15, vcc_lo
	s_cbranch_execz .LBB1_24
; %bb.16:                               ;   in Loop: Header=BB1_15 Depth=1
	s_load_b32 s6, s[12:13], 0x4
	v_dual_mov_b32 v27, v39 :: v_dual_mov_b32 v2, v8
	v_mov_b32_e32 v3, v9
	s_mov_b32 s16, 0
	s_waitcnt lgkmcnt(0)
	s_cmp_lt_u32 s2, s6
	s_cselect_b32 s6, 14, 20
	s_delay_alu instid0(SALU_CYCLE_1)
	s_add_u32 s6, s12, s6
	s_addc_u32 s7, s13, 0
	global_load_u16 v0, v9, s[6:7]
	s_waitcnt vmcnt(0)
	v_dual_mov_b32 v0, v15 :: v_dual_and_b32 v25, 0xffff, v0
	v_mov_b32_e32 v1, v16
	s_delay_alu instid0(VALU_DEP_2)
	v_mul_lo_u32 v26, v25, 24
	s_branch .LBB1_18
.LBB1_17:                               ;   in Loop: Header=BB1_18 Depth=2
	s_set_inst_prefetch_distance 0x2
	s_or_b32 exec_lo, exec_lo, s17
	v_add_co_u32 v2, s6, v2, s18
	s_delay_alu instid0(VALU_DEP_1) | instskip(SKIP_1) | instid1(VALU_DEP_1)
	v_add_co_ci_u32_e64 v3, s6, 0, v3, s6
	v_add_co_u32 v0, s7, v0, s10
	v_add_co_ci_u32_e64 v1, s7, 0, v1, s7
	s_delay_alu instid0(VALU_DEP_3) | instskip(SKIP_1) | instid1(VALU_DEP_2)
	v_cmp_lt_u64_e64 s6, 2, v[2:3]
	v_add_nc_u32_e32 v27, v27, v33
	s_or_b32 s16, s6, s16
	s_delay_alu instid0(SALU_CYCLE_1)
	s_and_not1_b32 exec_lo, exec_lo, s16
	s_cbranch_execz .LBB1_24
.LBB1_18:                               ;   Parent Loop BB1_15 Depth=1
                                        ; =>  This Loop Header: Depth=2
                                        ;       Child Loop BB1_21 Depth 3
                                        ;         Child Loop BB1_23 Depth 4
	s_and_saveexec_b32 s17, s1
	s_cbranch_execz .LBB1_17
; %bb.19:                               ;   in Loop: Header=BB1_18 Depth=2
	s_load_b32 s6, s[12:13], 0x0
	v_mov_b32_e32 v6, v10
	s_mov_b32 s19, 0
	v_mov_b32_e32 v29, v27
	v_mov_b32_e32 v7, v11
	s_waitcnt lgkmcnt(0)
	s_cmp_lt_u32 s14, s6
	s_cselect_b32 s6, 12, 18
	s_delay_alu instid0(SALU_CYCLE_1)
	s_add_u32 s6, s12, s6
	s_addc_u32 s7, s13, 0
	global_load_u16 v4, v9, s[6:7]
	s_waitcnt vmcnt(0)
	v_dual_mov_b32 v5, v1 :: v_dual_and_b32 v28, 0xffff, v4
	v_mov_b32_e32 v4, v0
	s_delay_alu instid0(VALU_DEP_2)
	v_lshlrev_b32_e32 v30, 3, v28
	s_set_inst_prefetch_distance 0x1
	s_branch .LBB1_21
	.p2align	6
.LBB1_20:                               ;   in Loop: Header=BB1_21 Depth=3
	s_or_b32 exec_lo, exec_lo, s20
	v_add_co_u32 v6, s6, v6, v25
	s_delay_alu instid0(VALU_DEP_1) | instskip(SKIP_1) | instid1(VALU_DEP_1)
	v_add_co_ci_u32_e64 v7, s6, 0, v7, s6
	v_add_co_u32 v4, s7, v4, v26
	v_add_co_ci_u32_e64 v5, s7, 0, v5, s7
	s_delay_alu instid0(VALU_DEP_3) | instskip(SKIP_1) | instid1(VALU_DEP_2)
	v_cmp_lt_u64_e64 s6, 2, v[6:7]
	v_add_nc_u32_e32 v29, v29, v26
	s_or_b32 s19, s6, s19
	s_delay_alu instid0(SALU_CYCLE_1)
	s_and_not1_b32 exec_lo, exec_lo, s19
	s_cbranch_execz .LBB1_17
.LBB1_21:                               ;   Parent Loop BB1_15 Depth=1
                                        ;     Parent Loop BB1_18 Depth=2
                                        ; =>    This Loop Header: Depth=3
                                        ;         Child Loop BB1_23 Depth 4
	s_and_saveexec_b32 s20, s3
	s_cbranch_execz .LBB1_20
; %bb.22:                               ;   in Loop: Header=BB1_21 Depth=3
	v_mov_b32_e32 v31, v29
	v_dual_mov_b32 v22, v5 :: v_dual_mov_b32 v21, v4
	v_dual_mov_b32 v24, v13 :: v_dual_mov_b32 v23, v12
	s_mov_b32 s21, 0
	.p2align	6
.LBB1_23:                               ;   Parent Loop BB1_15 Depth=1
                                        ;     Parent Loop BB1_18 Depth=2
                                        ;       Parent Loop BB1_21 Depth=3
                                        ; =>      This Inner Loop Header: Depth=4
	global_load_b64 v[47:48], v[21:22], off
	v_add_co_u32 v23, s6, v23, v28
	s_delay_alu instid0(VALU_DEP_1) | instskip(SKIP_1) | instid1(VALU_DEP_1)
	v_add_co_ci_u32_e64 v24, s6, 0, v24, s6
	v_add_co_u32 v21, s6, v21, v30
	v_add_co_ci_u32_e64 v22, s6, 0, v22, s6
	s_delay_alu instid0(VALU_DEP_3) | instskip(NEXT) | instid1(VALU_DEP_1)
	v_cmp_lt_u64_e64 s7, 2, v[23:24]
	s_or_b32 s21, s7, s21
	s_waitcnt vmcnt(0)
	ds_store_b64 v31, v[47:48]
	v_add_nc_u32_e32 v31, v31, v30
	s_and_not1_b32 exec_lo, exec_lo, s21
	s_cbranch_execnz .LBB1_23
	s_branch .LBB1_20
.LBB1_24:                               ;   in Loop: Header=BB1_15 Depth=1
	s_or_b32 exec_lo, exec_lo, s15
	s_waitcnt lgkmcnt(0)
	s_barrier
	buffer_gl0_inv
	s_and_saveexec_b32 s7, vcc_lo
	s_cbranch_execz .LBB1_33
; %bb.25:                               ;   in Loop: Header=BB1_15 Depth=1
	s_load_b32 s6, s[12:13], 0x4
	s_mov_b32 s15, 0
	v_mov_b32_e32 v26, v37
	v_dual_mov_b32 v4, v8 :: v_dual_mov_b32 v5, v9
	s_waitcnt lgkmcnt(0)
	s_cmp_lt_u32 s2, s6
	s_cselect_b32 s6, 14, 20
	s_delay_alu instid0(SALU_CYCLE_1) | instskip(SKIP_4) | instid1(VALU_DEP_1)
	s_add_u32 s16, s12, s6
	s_addc_u32 s17, s13, 0
	global_load_u16 v0, v9, s[16:17]
	s_waitcnt vmcnt(0)
	v_and_b32_e32 v25, 0xffff, v0
	v_lshlrev_b32_e32 v27, 5, v25
	s_branch .LBB1_27
.LBB1_26:                               ;   in Loop: Header=BB1_27 Depth=2
	s_or_b32 exec_lo, exec_lo, s16
	v_add_co_u32 v4, s6, v4, s18
	s_delay_alu instid0(VALU_DEP_1) | instskip(SKIP_1) | instid1(VALU_DEP_2)
	v_add_co_ci_u32_e64 v5, s6, 0, v5, s6
	v_add_nc_u32_e32 v26, v26, v34
	v_cmp_lt_u64_e64 s6, 2, v[4:5]
	s_delay_alu instid0(VALU_DEP_1) | instskip(NEXT) | instid1(SALU_CYCLE_1)
	s_or_b32 s15, s6, s15
	s_and_not1_b32 exec_lo, exec_lo, s15
	s_cbranch_execz .LBB1_33
.LBB1_27:                               ;   Parent Loop BB1_15 Depth=1
                                        ; =>  This Loop Header: Depth=2
                                        ;       Child Loop BB1_30 Depth 3
                                        ;         Child Loop BB1_32 Depth 4
	s_and_saveexec_b32 s16, s1
	s_cbranch_execz .LBB1_26
; %bb.28:                               ;   in Loop: Header=BB1_27 Depth=2
	s_load_b32 s6, s[12:13], 0x0
	v_mov_b32_e32 v6, v10
	s_mov_b32 s17, 0
	v_mov_b32_e32 v31, v26
	v_mov_b32_e32 v7, v11
	s_waitcnt lgkmcnt(0)
	s_cmp_lt_u32 s14, s6
	s_cselect_b32 s6, 12, 18
	s_delay_alu instid0(SALU_CYCLE_1) | instskip(SKIP_4) | instid1(VALU_DEP_1)
	s_add_u32 s20, s12, s6
	s_addc_u32 s21, s13, 0
	global_load_u16 v0, v9, s[20:21]
	s_waitcnt vmcnt(0)
	v_and_b32_e32 v28, 0xffff, v0
	v_mul_lo_u32 v29, v28, 24
	v_lshlrev_b32_e32 v30, 3, v28
	s_branch .LBB1_30
.LBB1_29:                               ;   in Loop: Header=BB1_30 Depth=3
	s_or_b32 exec_lo, exec_lo, s19
	v_add_co_u32 v6, s6, v6, v25
	s_delay_alu instid0(VALU_DEP_1) | instskip(SKIP_1) | instid1(VALU_DEP_2)
	v_add_co_ci_u32_e64 v7, s6, 0, v7, s6
	v_add_nc_u32_e32 v31, v31, v27
	v_cmp_lt_u64_e64 s6, 2, v[6:7]
	s_delay_alu instid0(VALU_DEP_1) | instskip(NEXT) | instid1(SALU_CYCLE_1)
	s_or_b32 s17, s6, s17
	s_and_not1_b32 exec_lo, exec_lo, s17
	s_cbranch_execz .LBB1_26
.LBB1_30:                               ;   Parent Loop BB1_15 Depth=1
                                        ;     Parent Loop BB1_27 Depth=2
                                        ; =>    This Loop Header: Depth=3
                                        ;         Child Loop BB1_32 Depth 4
	s_and_saveexec_b32 s19, s4
	s_cbranch_execz .LBB1_29
; %bb.31:                               ;   in Loop: Header=BB1_30 Depth=3
	v_mul_lo_u32 v0, v6, 24
	v_dual_mov_b32 v32, v14 :: v_dual_mov_b32 v47, v31
	v_dual_mov_b32 v24, v13 :: v_dual_mov_b32 v23, v12
	s_mov_b32 s20, 0
	s_delay_alu instid0(VALU_DEP_3)
	v_mad_u64_u32 v[21:22], null, 0x48, v4, v[0:1]
	ds_load_2addr_b64 v[0:3], v21 offset1:1
	ds_load_b64 v[21:22], v21 offset:16
	.p2align	6
.LBB1_32:                               ;   Parent Loop BB1_15 Depth=1
                                        ;     Parent Loop BB1_27 Depth=2
                                        ;       Parent Loop BB1_30 Depth=3
                                        ; =>      This Inner Loop Header: Depth=4
	ds_load_2addr_b64 v[48:51], v32 offset1:1
	ds_load_b64 v[52:53], v32 offset:16
	v_add_co_u32 v23, s6, v23, v28
	s_delay_alu instid0(VALU_DEP_1) | instskip(SKIP_1) | instid1(VALU_DEP_2)
	v_add_co_ci_u32_e64 v24, s6, 0, v24, s6
	v_add_nc_u32_e32 v32, v32, v29
	v_cmp_lt_u64_e64 s6, 3, v[23:24]
	s_delay_alu instid0(VALU_DEP_1) | instskip(SKIP_2) | instid1(VALU_DEP_1)
	s_or_b32 s20, s6, s20
	s_waitcnt lgkmcnt(1)
	v_fma_f64 v[48:49], v[0:1], v[48:49], 0
	v_fma_f64 v[48:49], v[2:3], v[50:51], v[48:49]
	s_waitcnt lgkmcnt(0)
	s_delay_alu instid0(VALU_DEP_1)
	v_fma_f64 v[48:49], v[21:22], v[52:53], v[48:49]
	ds_store_b64 v47, v[48:49]
	v_add_nc_u32_e32 v47, v47, v30
	s_and_not1_b32 exec_lo, exec_lo, s20
	s_cbranch_execnz .LBB1_32
	s_branch .LBB1_29
.LBB1_33:                               ;   in Loop: Header=BB1_15 Depth=1
	s_or_b32 exec_lo, exec_lo, s7
	s_waitcnt lgkmcnt(0)
	s_barrier
	buffer_gl0_inv
	s_and_saveexec_b32 s7, vcc_lo
	s_cbranch_execz .LBB1_42
; %bb.34:                               ;   in Loop: Header=BB1_15 Depth=1
	s_load_b32 s6, s[12:13], 0x4
	v_dual_mov_b32 v4, v8 :: v_dual_mov_b32 v5, v9
	s_mov_b32 s15, 0
	v_mov_b32_e32 v26, v41
	s_waitcnt lgkmcnt(0)
	s_cmp_lt_u32 s2, s6
	s_cselect_b32 s6, 14, 20
	s_delay_alu instid0(SALU_CYCLE_1) | instskip(SKIP_4) | instid1(VALU_DEP_1)
	s_add_u32 s16, s12, s6
	s_addc_u32 s17, s13, 0
	global_load_u16 v0, v9, s[16:17]
	s_waitcnt vmcnt(0)
	v_and_b32_e32 v25, 0xffff, v0
	v_dual_mov_b32 v27, v38 :: v_dual_lshlrev_b32 v28, 5, v25
	s_branch .LBB1_36
.LBB1_35:                               ;   in Loop: Header=BB1_36 Depth=2
	s_set_inst_prefetch_distance 0x2
	s_or_b32 exec_lo, exec_lo, s16
	v_add_co_u32 v4, s6, v4, s18
	s_delay_alu instid0(VALU_DEP_1) | instskip(SKIP_2) | instid1(VALU_DEP_3)
	v_add_co_ci_u32_e64 v5, s6, 0, v5, s6
	v_add_nc_u32_e32 v27, v27, v40
	v_add_nc_u32_e32 v26, v26, v34
	v_cmp_lt_u64_e64 s6, 2, v[4:5]
	s_delay_alu instid0(VALU_DEP_1) | instskip(NEXT) | instid1(SALU_CYCLE_1)
	s_or_b32 s15, s6, s15
	s_and_not1_b32 exec_lo, exec_lo, s15
	s_cbranch_execz .LBB1_42
.LBB1_36:                               ;   Parent Loop BB1_15 Depth=1
                                        ; =>  This Loop Header: Depth=2
                                        ;       Child Loop BB1_39 Depth 3
                                        ;         Child Loop BB1_41 Depth 4
	s_and_saveexec_b32 s16, s5
	s_cbranch_execz .LBB1_35
; %bb.37:                               ;   in Loop: Header=BB1_36 Depth=2
	s_load_b32 s6, s[12:13], 0x0
	s_mov_b32 s17, 0
	v_mov_b32_e32 v30, v27
	v_dual_mov_b32 v6, v10 :: v_dual_mov_b32 v7, v11
	s_waitcnt lgkmcnt(0)
	s_cmp_lt_u32 s14, s6
	s_cselect_b32 s6, 12, 18
	s_delay_alu instid0(SALU_CYCLE_1) | instskip(SKIP_4) | instid1(VALU_DEP_1)
	s_add_u32 s20, s12, s6
	s_addc_u32 s21, s13, 0
	global_load_u16 v0, v9, s[20:21]
	s_waitcnt vmcnt(0)
	v_and_b32_e32 v29, 0xffff, v0
	v_lshlrev_b32_e32 v31, 3, v29
	s_set_inst_prefetch_distance 0x1
	s_branch .LBB1_39
	.p2align	6
.LBB1_38:                               ;   in Loop: Header=BB1_39 Depth=3
	s_or_b32 exec_lo, exec_lo, s19
	v_add_co_u32 v6, s6, v6, v25
	s_delay_alu instid0(VALU_DEP_1) | instskip(SKIP_1) | instid1(VALU_DEP_2)
	v_add_co_ci_u32_e64 v7, s6, 0, v7, s6
	v_add_nc_u32_e32 v30, v30, v28
	v_cmp_lt_u64_e64 s6, 3, v[6:7]
	s_delay_alu instid0(VALU_DEP_1) | instskip(NEXT) | instid1(SALU_CYCLE_1)
	s_or_b32 s17, s6, s17
	s_and_not1_b32 exec_lo, exec_lo, s17
	s_cbranch_execz .LBB1_35
.LBB1_39:                               ;   Parent Loop BB1_15 Depth=1
                                        ;     Parent Loop BB1_36 Depth=2
                                        ; =>    This Loop Header: Depth=3
                                        ;         Child Loop BB1_41 Depth 4
	s_and_saveexec_b32 s19, s4
	s_cbranch_execz .LBB1_38
; %bb.40:                               ;   in Loop: Header=BB1_39 Depth=3
	v_mul_lo_u32 v21, v6, 24
	v_mov_b32_e32 v24, v13
	v_dual_mov_b32 v32, 0 :: v_dual_mov_b32 v23, v12
	s_mov_b32 s20, 0
	ds_load_2addr_b64 v[0:3], v21 offset0:128 offset1:129
	ds_load_b64 v[21:22], v21 offset:1040
	.p2align	6
.LBB1_41:                               ;   Parent Loop BB1_15 Depth=1
                                        ;     Parent Loop BB1_36 Depth=2
                                        ;       Parent Loop BB1_39 Depth=3
                                        ; =>      This Inner Loop Header: Depth=4
	v_add_nc_u32_e32 v51, v26, v32
	v_add_co_u32 v23, s6, v23, v29
	s_delay_alu instid0(VALU_DEP_1) | instskip(SKIP_2) | instid1(VALU_DEP_1)
	v_add_co_ci_u32_e64 v24, s6, 0, v24, s6
	ds_load_2addr_b64 v[47:50], v51 offset1:4
	v_cmp_lt_u64_e64 s6, 3, v[23:24]
	s_or_b32 s20, s6, s20
	s_waitcnt lgkmcnt(0)
	v_fma_f64 v[47:48], v[0:1], v[47:48], 0
	s_delay_alu instid0(VALU_DEP_1)
	v_fma_f64 v[47:48], v[2:3], v[49:50], v[47:48]
	ds_load_b64 v[49:50], v51 offset:64
	s_waitcnt lgkmcnt(0)
	v_fma_f64 v[47:48], v[21:22], v[49:50], v[47:48]
	v_add_nc_u32_e32 v49, v30, v32
	v_add_nc_u32_e32 v32, v32, v31
	ds_store_b64 v49, v[47:48]
	s_and_not1_b32 exec_lo, exec_lo, s20
	s_cbranch_execnz .LBB1_41
	s_branch .LBB1_38
.LBB1_42:                               ;   in Loop: Header=BB1_15 Depth=1
	s_or_b32 exec_lo, exec_lo, s7
	s_waitcnt lgkmcnt(0)
	s_barrier
	buffer_gl0_inv
	s_and_saveexec_b32 s15, s0
	s_cbranch_execz .LBB1_51
; %bb.43:                               ;   in Loop: Header=BB1_15 Depth=1
	s_load_b32 s6, s[12:13], 0x4
	v_mov_b32_e32 v6, v8
	v_dual_mov_b32 v4, v17 :: v_dual_mov_b32 v5, v18
	s_mov_b32 s16, 0
	v_mov_b32_e32 v47, v42
	v_mov_b32_e32 v7, v9
	s_waitcnt lgkmcnt(0)
	s_cmp_lt_u32 s2, s6
	s_cselect_b32 s6, 14, 20
	s_delay_alu instid0(SALU_CYCLE_1) | instskip(SKIP_4) | instid1(VALU_DEP_1)
	s_add_u32 s6, s12, s6
	s_addc_u32 s7, s13, 0
	global_load_u16 v0, v9, s[6:7]
	s_waitcnt vmcnt(0)
	v_and_b32_e32 v32, 0xffff, v0
	v_lshlrev_b32_e32 v48, 5, v32
	s_branch .LBB1_45
.LBB1_44:                               ;   in Loop: Header=BB1_45 Depth=2
	s_or_b32 exec_lo, exec_lo, s17
	v_add_co_u32 v6, s6, v6, s18
	s_delay_alu instid0(VALU_DEP_1) | instskip(SKIP_1) | instid1(VALU_DEP_1)
	v_add_co_ci_u32_e64 v7, s6, 0, v7, s6
	v_add_co_u32 v4, s7, v4, s11
	v_add_co_ci_u32_e64 v5, s7, 0, v5, s7
	s_delay_alu instid0(VALU_DEP_3) | instskip(SKIP_1) | instid1(VALU_DEP_2)
	v_cmp_lt_u64_e64 s6, 3, v[6:7]
	v_add_nc_u32_e32 v47, v47, v40
	s_or_b32 s16, s6, s16
	s_delay_alu instid0(SALU_CYCLE_1)
	s_and_not1_b32 exec_lo, exec_lo, s16
	s_cbranch_execz .LBB1_51
.LBB1_45:                               ;   Parent Loop BB1_15 Depth=1
                                        ; =>  This Loop Header: Depth=2
                                        ;       Child Loop BB1_48 Depth 3
                                        ;         Child Loop BB1_50 Depth 4
	s_and_saveexec_b32 s17, s5
	s_cbranch_execz .LBB1_44
; %bb.46:                               ;   in Loop: Header=BB1_45 Depth=2
	s_load_b32 s6, s[12:13], 0x0
	v_mad_u64_u32 v[21:22], null, v6, 24, 0x400
	v_mov_b32_e32 v51, v47
	v_dual_mov_b32 v25, v11 :: v_dual_mov_b32 v24, v10
	s_mov_b32 s19, 0
	v_mov_b32_e32 v50, v36
	s_waitcnt lgkmcnt(0)
	s_cmp_lt_u32 s14, s6
	s_cselect_b32 s6, 12, 18
	s_delay_alu instid0(SALU_CYCLE_1)
	s_add_u32 s6, s12, s6
	s_addc_u32 s7, s13, 0
	global_load_u16 v0, v9, s[6:7]
	s_waitcnt vmcnt(0)
	v_and_b32_e32 v49, 0xffff, v0
	v_dual_mov_b32 v23, v5 :: v_dual_mov_b32 v22, v4
	s_delay_alu instid0(VALU_DEP_2)
	v_lshlrev_b32_e32 v52, 3, v49
	s_branch .LBB1_48
.LBB1_47:                               ;   in Loop: Header=BB1_48 Depth=3
	s_set_inst_prefetch_distance 0x2
	s_or_b32 exec_lo, exec_lo, s20
	v_add_co_u32 v24, s6, v24, v32
	s_delay_alu instid0(VALU_DEP_1) | instskip(SKIP_1) | instid1(VALU_DEP_1)
	v_add_co_ci_u32_e64 v25, s6, 0, v25, s6
	v_add_co_u32 v22, s7, v22, v48
	v_add_co_ci_u32_e64 v23, s7, 0, v23, s7
	s_delay_alu instid0(VALU_DEP_3) | instskip(SKIP_2) | instid1(VALU_DEP_3)
	v_cmp_lt_u64_e64 s6, 3, v[24:25]
	v_add_nc_u32_e32 v51, v51, v48
	v_add_nc_u32_e32 v50, v50, v48
	s_or_b32 s19, s6, s19
	s_delay_alu instid0(SALU_CYCLE_1)
	s_and_not1_b32 exec_lo, exec_lo, s19
	s_cbranch_execz .LBB1_44
.LBB1_48:                               ;   Parent Loop BB1_15 Depth=1
                                        ;     Parent Loop BB1_45 Depth=2
                                        ; =>    This Loop Header: Depth=3
                                        ;         Child Loop BB1_50 Depth 4
	s_and_saveexec_b32 s20, s4
	s_cbranch_execz .LBB1_47
; %bb.49:                               ;   in Loop: Header=BB1_48 Depth=3
	ds_load_2addr_b64 v[0:3], v21 offset1:1
	ds_load_b64 v[26:27], v21 offset:16
	v_mov_b32_e32 v29, v23
	v_dual_mov_b32 v31, v13 :: v_dual_mov_b32 v30, v12
	v_dual_mov_b32 v53, 0 :: v_dual_mov_b32 v28, v22
	s_mov_b32 s21, 0
	s_set_inst_prefetch_distance 0x1
	.p2align	6
.LBB1_50:                               ;   Parent Loop BB1_15 Depth=1
                                        ;     Parent Loop BB1_45 Depth=2
                                        ;       Parent Loop BB1_48 Depth=3
                                        ; =>      This Inner Loop Header: Depth=4
	global_load_b64 v[58:59], v[28:29], off
	v_add_nc_u32_e32 v60, v50, v53
	v_add_co_u32 v30, s6, v30, v49
	s_delay_alu instid0(VALU_DEP_1) | instskip(SKIP_4) | instid1(VALU_DEP_2)
	v_add_co_ci_u32_e64 v31, s6, 0, v31, s6
	ds_load_2addr_b64 v[54:57], v60 offset1:16
	v_add_co_u32 v28, s7, v28, v52
	v_cmp_lt_u64_e64 s6, 3, v[30:31]
	v_add_co_ci_u32_e64 v29, s7, 0, v29, s7
	s_or_b32 s21, s6, s21
	s_waitcnt lgkmcnt(0)
	v_fma_f64 v[54:55], v[0:1], v[54:55], 0
	s_delay_alu instid0(VALU_DEP_1)
	v_fma_f64 v[54:55], v[2:3], v[56:57], v[54:55]
	ds_load_b64 v[56:57], v60 offset:256
	s_waitcnt lgkmcnt(0)
	v_fma_f64 v[54:55], v[26:27], v[56:57], v[54:55]
	v_add_nc_u32_e32 v56, v51, v53
	v_add_nc_u32_e32 v53, v53, v52
	s_waitcnt vmcnt(0)
	s_delay_alu instid0(VALU_DEP_3)
	v_mul_f64 v[54:55], v[58:59], v[54:55]
	ds_store_b64 v56, v[54:55]
	s_and_not1_b32 exec_lo, exec_lo, s21
	s_cbranch_execnz .LBB1_50
	s_branch .LBB1_47
.LBB1_51:                               ;   in Loop: Header=BB1_15 Depth=1
	s_or_b32 exec_lo, exec_lo, s15
	s_waitcnt lgkmcnt(0)
	s_barrier
	buffer_gl0_inv
	s_and_saveexec_b32 s7, s0
	s_cbranch_execz .LBB1_60
; %bb.52:                               ;   in Loop: Header=BB1_15 Depth=1
	s_load_b32 s6, s[12:13], 0x4
	v_mov_b32_e32 v29, v43
	s_mov_b32 s15, 0
	v_dual_mov_b32 v22, v9 :: v_dual_mov_b32 v21, v8
	s_waitcnt lgkmcnt(0)
	s_cmp_lt_u32 s2, s6
	s_cselect_b32 s6, 14, 20
	s_delay_alu instid0(SALU_CYCLE_1) | instskip(SKIP_4) | instid1(VALU_DEP_1)
	s_add_u32 s16, s12, s6
	s_addc_u32 s17, s13, 0
	global_load_u16 v0, v9, s[16:17]
	s_waitcnt vmcnt(0)
	v_and_b32_e32 v27, 0xffff, v0
	v_mul_lo_u32 v28, v27, 24
	s_branch .LBB1_54
.LBB1_53:                               ;   in Loop: Header=BB1_54 Depth=2
	s_or_b32 exec_lo, exec_lo, s16
	v_add_co_u32 v21, s6, v21, s18
	s_delay_alu instid0(VALU_DEP_1) | instskip(SKIP_1) | instid1(VALU_DEP_2)
	v_add_co_ci_u32_e64 v22, s6, 0, v22, s6
	v_add_nc_u32_e32 v29, v29, v34
	v_cmp_lt_u64_e64 s6, 3, v[21:22]
	s_delay_alu instid0(VALU_DEP_1) | instskip(NEXT) | instid1(SALU_CYCLE_1)
	s_or_b32 s15, s6, s15
	s_and_not1_b32 exec_lo, exec_lo, s15
	s_cbranch_execz .LBB1_60
.LBB1_54:                               ;   Parent Loop BB1_15 Depth=1
                                        ; =>  This Loop Header: Depth=2
                                        ;       Child Loop BB1_57 Depth 3
                                        ;         Child Loop BB1_59 Depth 4
	s_and_saveexec_b32 s16, s5
	s_cbranch_execz .LBB1_53
; %bb.55:                               ;   in Loop: Header=BB1_54 Depth=2
	s_load_b32 s6, s[12:13], 0x0
	s_mov_b32 s17, 0
	v_dual_mov_b32 v31, v29 :: v_dual_mov_b32 v24, v11
	v_mov_b32_e32 v23, v10
	s_waitcnt lgkmcnt(0)
	s_cmp_lt_u32 s14, s6
	s_cselect_b32 s6, 12, 18
	s_delay_alu instid0(SALU_CYCLE_1) | instskip(SKIP_4) | instid1(VALU_DEP_1)
	s_add_u32 s20, s12, s6
	s_addc_u32 s21, s13, 0
	global_load_u16 v0, v9, s[20:21]
	s_waitcnt vmcnt(0)
	v_and_b32_e32 v30, 0xffff, v0
	v_lshlrev_b32_e32 v47, 5, v30
	v_lshlrev_b32_e32 v32, 3, v30
	s_branch .LBB1_57
.LBB1_56:                               ;   in Loop: Header=BB1_57 Depth=3
	s_or_b32 exec_lo, exec_lo, s19
	v_add_co_u32 v23, s6, v23, v27
	s_delay_alu instid0(VALU_DEP_1) | instskip(SKIP_1) | instid1(VALU_DEP_2)
	v_add_co_ci_u32_e64 v24, s6, 0, v24, s6
	v_add_nc_u32_e32 v31, v31, v28
	v_cmp_lt_u64_e64 s6, 3, v[23:24]
	s_delay_alu instid0(VALU_DEP_1) | instskip(NEXT) | instid1(SALU_CYCLE_1)
	s_or_b32 s17, s6, s17
	s_and_not1_b32 exec_lo, exec_lo, s17
	s_cbranch_execz .LBB1_53
.LBB1_57:                               ;   Parent Loop BB1_15 Depth=1
                                        ;     Parent Loop BB1_54 Depth=2
                                        ; =>    This Loop Header: Depth=3
                                        ;         Child Loop BB1_59 Depth 4
	s_and_saveexec_b32 s19, s3
	s_cbranch_execz .LBB1_56
; %bb.58:                               ;   in Loop: Header=BB1_57 Depth=3
	v_dual_mov_b32 v49, v31 :: v_dual_lshlrev_b32 v0, 5, v23
	v_mov_b32_e32 v48, v44
	v_dual_mov_b32 v26, v13 :: v_dual_mov_b32 v25, v12
	s_delay_alu instid0(VALU_DEP_3)
	v_lshl_add_u32 v4, v21, 7, v0
	s_mov_b32 s20, 0
	ds_load_b128 v[0:3], v4 offset:512
	ds_load_b128 v[4:7], v4 offset:528
	.p2align	6
.LBB1_59:                               ;   Parent Loop BB1_15 Depth=1
                                        ;     Parent Loop BB1_54 Depth=2
                                        ;       Parent Loop BB1_57 Depth=3
                                        ; =>      This Inner Loop Header: Depth=4
	ds_load_b128 v[50:53], v48
	ds_load_b128 v[54:57], v48 offset:16
	v_add_co_u32 v25, s6, v25, v30
	s_delay_alu instid0(VALU_DEP_1) | instskip(SKIP_1) | instid1(VALU_DEP_2)
	v_add_co_ci_u32_e64 v26, s6, 0, v26, s6
	v_add_nc_u32_e32 v48, v48, v47
	v_cmp_lt_u64_e64 s6, 2, v[25:26]
	s_delay_alu instid0(VALU_DEP_1) | instskip(SKIP_2) | instid1(VALU_DEP_1)
	s_or_b32 s20, s6, s20
	s_waitcnt lgkmcnt(1)
	v_fma_f64 v[50:51], v[0:1], v[50:51], 0
	v_fma_f64 v[50:51], v[2:3], v[52:53], v[50:51]
	s_waitcnt lgkmcnt(0)
	s_delay_alu instid0(VALU_DEP_1) | instskip(NEXT) | instid1(VALU_DEP_1)
	v_fma_f64 v[50:51], v[4:5], v[54:55], v[50:51]
	v_fma_f64 v[50:51], v[6:7], v[56:57], v[50:51]
	ds_store_b64 v49, v[50:51]
	v_add_nc_u32_e32 v49, v49, v32
	s_and_not1_b32 exec_lo, exec_lo, s20
	s_cbranch_execnz .LBB1_59
	s_branch .LBB1_56
.LBB1_60:                               ;   in Loop: Header=BB1_15 Depth=1
	s_or_b32 exec_lo, exec_lo, s7
	s_waitcnt lgkmcnt(0)
	s_barrier
	buffer_gl0_inv
	s_and_saveexec_b32 s7, s0
	s_cbranch_execz .LBB1_69
; %bb.61:                               ;   in Loop: Header=BB1_15 Depth=1
	s_load_b32 s6, s[12:13], 0x4
	v_dual_mov_b32 v29, v35 :: v_dual_mov_b32 v22, v9
	v_mov_b32_e32 v21, v8
	s_mov_b32 s15, 0
	v_mov_b32_e32 v30, v45
	s_waitcnt lgkmcnt(0)
	s_cmp_lt_u32 s2, s6
	s_cselect_b32 s6, 14, 20
	s_delay_alu instid0(SALU_CYCLE_1) | instskip(SKIP_4) | instid1(VALU_DEP_1)
	s_add_u32 s16, s12, s6
	s_addc_u32 s17, s13, 0
	global_load_u16 v0, v9, s[16:17]
	s_waitcnt vmcnt(0)
	v_and_b32_e32 v27, 0xffff, v0
	v_mul_lo_u32 v28, v27, 24
	s_branch .LBB1_63
.LBB1_62:                               ;   in Loop: Header=BB1_63 Depth=2
	s_or_b32 exec_lo, exec_lo, s16
	v_add_co_u32 v21, s6, v21, s18
	s_delay_alu instid0(VALU_DEP_1) | instskip(SKIP_2) | instid1(VALU_DEP_3)
	v_add_co_ci_u32_e64 v22, s6, 0, v22, s6
	v_add_nc_u32_e32 v30, v30, v33
	v_add_nc_u32_e32 v29, v29, v34
	v_cmp_lt_u64_e64 s6, 3, v[21:22]
	s_delay_alu instid0(VALU_DEP_1) | instskip(NEXT) | instid1(SALU_CYCLE_1)
	s_or_b32 s15, s6, s15
	s_and_not1_b32 exec_lo, exec_lo, s15
	s_cbranch_execz .LBB1_69
.LBB1_63:                               ;   Parent Loop BB1_15 Depth=1
                                        ; =>  This Loop Header: Depth=2
                                        ;       Child Loop BB1_66 Depth 3
                                        ;         Child Loop BB1_68 Depth 4
	s_and_saveexec_b32 s16, s1
	s_cbranch_execz .LBB1_62
; %bb.64:                               ;   in Loop: Header=BB1_63 Depth=2
	s_load_b32 s6, s[12:13], 0x0
	s_mov_b32 s17, 0
	v_mov_b32_e32 v32, v30
	v_dual_mov_b32 v24, v11 :: v_dual_mov_b32 v23, v10
	s_waitcnt lgkmcnt(0)
	s_cmp_lt_u32 s14, s6
	s_cselect_b32 s6, 12, 18
	s_delay_alu instid0(SALU_CYCLE_1) | instskip(SKIP_4) | instid1(VALU_DEP_1)
	s_add_u32 s20, s12, s6
	s_addc_u32 s21, s13, 0
	global_load_u16 v0, v9, s[20:21]
	s_waitcnt vmcnt(0)
	v_and_b32_e32 v31, 0xffff, v0
	v_lshlrev_b32_e32 v47, 3, v31
	s_branch .LBB1_66
.LBB1_65:                               ;   in Loop: Header=BB1_66 Depth=3
	s_or_b32 exec_lo, exec_lo, s19
	v_add_co_u32 v23, s6, v23, v27
	s_delay_alu instid0(VALU_DEP_1) | instskip(SKIP_1) | instid1(VALU_DEP_2)
	v_add_co_ci_u32_e64 v24, s6, 0, v24, s6
	v_add_nc_u32_e32 v32, v32, v28
	v_cmp_lt_u64_e64 s6, 2, v[23:24]
	s_delay_alu instid0(VALU_DEP_1) | instskip(NEXT) | instid1(SALU_CYCLE_1)
	s_or_b32 s17, s6, s17
	s_and_not1_b32 exec_lo, exec_lo, s17
	s_cbranch_execz .LBB1_62
.LBB1_66:                               ;   Parent Loop BB1_15 Depth=1
                                        ;     Parent Loop BB1_63 Depth=2
                                        ; =>    This Loop Header: Depth=3
                                        ;         Child Loop BB1_68 Depth 4
	s_and_saveexec_b32 s19, s3
	s_cbranch_execz .LBB1_65
; %bb.67:                               ;   in Loop: Header=BB1_66 Depth=3
	v_lshlrev_b32_e32 v4, 5, v23
	v_dual_mov_b32 v26, v13 :: v_dual_mov_b32 v25, v12
	v_mov_b32_e32 v48, 0
	s_mov_b32 s20, 0
	ds_load_b128 v[0:3], v4 offset:1120
	ds_load_b128 v[4:7], v4 offset:1136
	.p2align	6
.LBB1_68:                               ;   Parent Loop BB1_15 Depth=1
                                        ;     Parent Loop BB1_63 Depth=2
                                        ;       Parent Loop BB1_66 Depth=3
                                        ; =>      This Inner Loop Header: Depth=4
	v_add_nc_u32_e32 v55, v29, v48
	v_add_co_u32 v25, s6, v25, v31
	s_delay_alu instid0(VALU_DEP_1) | instskip(SKIP_2) | instid1(VALU_DEP_1)
	v_add_co_ci_u32_e64 v26, s6, 0, v26, s6
	ds_load_2addr_b64 v[49:52], v55 offset1:3
	v_cmp_lt_u64_e64 s6, 2, v[25:26]
	s_or_b32 s20, s6, s20
	s_waitcnt lgkmcnt(0)
	v_fma_f64 v[49:50], v[0:1], v[49:50], 0
	s_delay_alu instid0(VALU_DEP_1) | instskip(SKIP_3) | instid1(VALU_DEP_1)
	v_fma_f64 v[53:54], v[2:3], v[51:52], v[49:50]
	ds_load_2addr_b64 v[49:52], v55 offset0:6 offset1:9
	s_waitcnt lgkmcnt(0)
	v_fma_f64 v[49:50], v[4:5], v[49:50], v[53:54]
	v_fma_f64 v[49:50], v[6:7], v[51:52], v[49:50]
	v_add_nc_u32_e32 v51, v32, v48
	v_add_nc_u32_e32 v48, v48, v47
	ds_store_b64 v51, v[49:50]
	s_and_not1_b32 exec_lo, exec_lo, s20
	s_cbranch_execnz .LBB1_68
	s_branch .LBB1_65
.LBB1_69:                               ;   in Loop: Header=BB1_15 Depth=1
	s_or_b32 exec_lo, exec_lo, s7
	s_waitcnt lgkmcnt(0)
	s_barrier
	buffer_gl0_inv
	s_and_saveexec_b32 s15, vcc_lo
	s_cbranch_execz .LBB1_14
; %bb.70:                               ;   in Loop: Header=BB1_15 Depth=1
	s_load_b32 s6, s[12:13], 0x4
	s_mov_b32 s16, 0
	v_dual_mov_b32 v22, v20 :: v_dual_mov_b32 v21, v19
	v_dual_mov_b32 v24, v9 :: v_dual_mov_b32 v23, v8
	s_waitcnt lgkmcnt(0)
	s_cmp_lt_u32 s2, s6
	s_cselect_b32 s6, 14, 20
	s_delay_alu instid0(SALU_CYCLE_1) | instskip(SKIP_4) | instid1(VALU_DEP_1)
	s_add_u32 s6, s12, s6
	s_addc_u32 s7, s13, 0
	global_load_u16 v0, v9, s[6:7]
	s_waitcnt vmcnt(0)
	v_and_b32_e32 v47, 0xffff, v0
	v_mul_lo_u32 v48, v47, 24
	s_branch .LBB1_72
.LBB1_71:                               ;   in Loop: Header=BB1_72 Depth=2
	s_or_b32 exec_lo, exec_lo, s17
	v_add_co_u32 v23, s6, v23, s18
	s_delay_alu instid0(VALU_DEP_1) | instskip(SKIP_1) | instid1(VALU_DEP_1)
	v_add_co_ci_u32_e64 v24, s6, 0, v24, s6
	v_add_co_u32 v21, s7, v21, s10
	v_add_co_ci_u32_e64 v22, s7, 0, v22, s7
	s_delay_alu instid0(VALU_DEP_3) | instskip(NEXT) | instid1(VALU_DEP_1)
	v_cmp_lt_u64_e64 s6, 2, v[23:24]
	s_or_b32 s16, s6, s16
	s_delay_alu instid0(SALU_CYCLE_1)
	s_and_not1_b32 exec_lo, exec_lo, s16
	s_cbranch_execz .LBB1_14
.LBB1_72:                               ;   Parent Loop BB1_15 Depth=1
                                        ; =>  This Loop Header: Depth=2
                                        ;       Child Loop BB1_75 Depth 3
                                        ;         Child Loop BB1_77 Depth 4
	s_and_saveexec_b32 s17, s1
	s_cbranch_execz .LBB1_71
; %bb.73:                               ;   in Loop: Header=BB1_72 Depth=2
	s_load_b32 s6, s[12:13], 0xc
	v_mov_b32_e32 v26, v22
	v_lshl_add_u32 v49, v23, 5, 0x460
	v_dual_mov_b32 v50, v46 :: v_dual_mov_b32 v25, v21
	v_dual_mov_b32 v28, v11 :: v_dual_mov_b32 v27, v10
	s_mov_b32 s21, 0
	s_waitcnt lgkmcnt(0)
	s_and_b32 s19, s6, 0xffff
	s_delay_alu instid0(SALU_CYCLE_1)
	s_lshl_b32 s20, s19, 3
	s_branch .LBB1_75
.LBB1_74:                               ;   in Loop: Header=BB1_75 Depth=3
	s_or_b32 exec_lo, exec_lo, s22
	v_add_co_u32 v27, s6, v27, v47
	s_delay_alu instid0(VALU_DEP_1) | instskip(SKIP_1) | instid1(VALU_DEP_1)
	v_add_co_ci_u32_e64 v28, s6, 0, v28, s6
	v_add_co_u32 v25, s7, v25, v48
	v_add_co_ci_u32_e64 v26, s7, 0, v26, s7
	s_delay_alu instid0(VALU_DEP_3) | instskip(SKIP_1) | instid1(VALU_DEP_2)
	v_cmp_lt_u64_e64 s6, 2, v[27:28]
	v_add_nc_u32_e32 v50, v50, v48
	s_or_b32 s21, s6, s21
	s_delay_alu instid0(SALU_CYCLE_1)
	s_and_not1_b32 exec_lo, exec_lo, s21
	s_cbranch_execz .LBB1_71
.LBB1_75:                               ;   Parent Loop BB1_15 Depth=1
                                        ;     Parent Loop BB1_72 Depth=2
                                        ; =>    This Loop Header: Depth=3
                                        ;         Child Loop BB1_77 Depth 4
	s_and_saveexec_b32 s22, s3
	s_cbranch_execz .LBB1_74
; %bb.76:                               ;   in Loop: Header=BB1_75 Depth=3
	ds_load_b128 v[0:3], v49
	ds_load_b128 v[4:7], v49 offset:16
	v_dual_mov_b32 v51, v50 :: v_dual_mov_b32 v32, v13
	v_dual_mov_b32 v30, v26 :: v_dual_mov_b32 v29, v25
	v_mov_b32_e32 v31, v12
	s_mov_b32 s23, 0
	.p2align	6
.LBB1_77:                               ;   Parent Loop BB1_15 Depth=1
                                        ;     Parent Loop BB1_72 Depth=2
                                        ;       Parent Loop BB1_75 Depth=3
                                        ; =>      This Inner Loop Header: Depth=4
	ds_load_2addr_b64 v[52:55], v51 offset1:9
	v_add_co_u32 v31, s6, v31, s19
	s_delay_alu instid0(VALU_DEP_1) | instskip(NEXT) | instid1(VALU_DEP_1)
	v_add_co_ci_u32_e64 v32, s6, 0, v32, s6
	v_cmp_lt_u64_e64 s6, 2, v[31:32]
	s_delay_alu instid0(VALU_DEP_1) | instskip(SKIP_2) | instid1(VALU_DEP_1)
	s_or_b32 s23, s6, s23
	s_waitcnt lgkmcnt(0)
	v_fma_f64 v[52:53], v[52:53], v[0:1], 0
	v_fma_f64 v[56:57], v[54:55], v[2:3], v[52:53]
	ds_load_2addr_b64 v[52:55], v51 offset0:18 offset1:27
	v_add_nc_u32_e32 v51, s20, v51
	s_waitcnt lgkmcnt(0)
	v_fma_f64 v[52:53], v[52:53], v[4:5], v[56:57]
	s_delay_alu instid0(VALU_DEP_1) | instskip(SKIP_2) | instid1(VALU_DEP_1)
	v_fma_f64 v[52:53], v[54:55], v[6:7], v[52:53]
	global_store_b64 v[29:30], v[52:53], off
	v_add_co_u32 v29, s7, v29, s20
	v_add_co_ci_u32_e64 v30, s7, 0, v30, s7
	s_and_not1_b32 exec_lo, exec_lo, s23
	s_cbranch_execnz .LBB1_77
	s_branch .LBB1_74
.LBB1_78:
	s_endpgm
	.section	.rodata,"a",@progbits
	.p2align	6, 0x0
	.amdhsa_kernel _ZN4RAJA34launch_new_reduce_global_fcn_fixedIZN8rajaperf4apps11MASSVEC3DPA17runHipVariantImplILm64ELm0EEEvNS1_9VariantIDEEUlNS_14LaunchContextTINS_3hip33LaunchContextIndicesAndDimsPolicyINS7_14IndicesAndDimsILb0ELb0ELb0ELb0EEEEEEEE_Li64ENS_4expt15ForallParamPackIJEEEEEvT_T1_
		.amdhsa_group_segment_fixed_size 1216
		.amdhsa_private_segment_fixed_size 0
		.amdhsa_kernarg_size 304
		.amdhsa_user_sgpr_count 14
		.amdhsa_user_sgpr_dispatch_ptr 0
		.amdhsa_user_sgpr_queue_ptr 0
		.amdhsa_user_sgpr_kernarg_segment_ptr 1
		.amdhsa_user_sgpr_dispatch_id 0
		.amdhsa_user_sgpr_private_segment_size 0
		.amdhsa_wavefront_size32 1
		.amdhsa_uses_dynamic_stack 0
		.amdhsa_enable_private_segment 0
		.amdhsa_system_sgpr_workgroup_id_x 1
		.amdhsa_system_sgpr_workgroup_id_y 1
		.amdhsa_system_sgpr_workgroup_id_z 0
		.amdhsa_system_sgpr_workgroup_info 0
		.amdhsa_system_vgpr_workitem_id 2
		.amdhsa_next_free_vgpr 61
		.amdhsa_next_free_sgpr 24
		.amdhsa_reserve_vcc 1
		.amdhsa_float_round_mode_32 0
		.amdhsa_float_round_mode_16_64 0
		.amdhsa_float_denorm_mode_32 3
		.amdhsa_float_denorm_mode_16_64 3
		.amdhsa_dx10_clamp 1
		.amdhsa_ieee_mode 1
		.amdhsa_fp16_overflow 0
		.amdhsa_workgroup_processor_mode 1
		.amdhsa_memory_ordered 1
		.amdhsa_forward_progress 0
		.amdhsa_shared_vgpr_count 0
		.amdhsa_exception_fp_ieee_invalid_op 0
		.amdhsa_exception_fp_denorm_src 0
		.amdhsa_exception_fp_ieee_div_zero 0
		.amdhsa_exception_fp_ieee_overflow 0
		.amdhsa_exception_fp_ieee_underflow 0
		.amdhsa_exception_fp_ieee_inexact 0
		.amdhsa_exception_int_div_zero 0
	.end_amdhsa_kernel
	.section	.text._ZN4RAJA34launch_new_reduce_global_fcn_fixedIZN8rajaperf4apps11MASSVEC3DPA17runHipVariantImplILm64ELm0EEEvNS1_9VariantIDEEUlNS_14LaunchContextTINS_3hip33LaunchContextIndicesAndDimsPolicyINS7_14IndicesAndDimsILb0ELb0ELb0ELb0EEEEEEEE_Li64ENS_4expt15ForallParamPackIJEEEEEvT_T1_,"axG",@progbits,_ZN4RAJA34launch_new_reduce_global_fcn_fixedIZN8rajaperf4apps11MASSVEC3DPA17runHipVariantImplILm64ELm0EEEvNS1_9VariantIDEEUlNS_14LaunchContextTINS_3hip33LaunchContextIndicesAndDimsPolicyINS7_14IndicesAndDimsILb0ELb0ELb0ELb0EEEEEEEE_Li64ENS_4expt15ForallParamPackIJEEEEEvT_T1_,comdat
.Lfunc_end1:
	.size	_ZN4RAJA34launch_new_reduce_global_fcn_fixedIZN8rajaperf4apps11MASSVEC3DPA17runHipVariantImplILm64ELm0EEEvNS1_9VariantIDEEUlNS_14LaunchContextTINS_3hip33LaunchContextIndicesAndDimsPolicyINS7_14IndicesAndDimsILb0ELb0ELb0ELb0EEEEEEEE_Li64ENS_4expt15ForallParamPackIJEEEEEvT_T1_, .Lfunc_end1-_ZN4RAJA34launch_new_reduce_global_fcn_fixedIZN8rajaperf4apps11MASSVEC3DPA17runHipVariantImplILm64ELm0EEEvNS1_9VariantIDEEUlNS_14LaunchContextTINS_3hip33LaunchContextIndicesAndDimsPolicyINS7_14IndicesAndDimsILb0ELb0ELb0ELb0EEEEEEEE_Li64ENS_4expt15ForallParamPackIJEEEEEvT_T1_
                                        ; -- End function
	.section	.AMDGPU.csdata,"",@progbits
; Kernel info:
; codeLenInByte = 4616
; NumSgprs: 26
; NumVgprs: 61
; ScratchSize: 0
; MemoryBound: 0
; FloatMode: 240
; IeeeMode: 1
; LDSByteSize: 1216 bytes/workgroup (compile time only)
; SGPRBlocks: 3
; VGPRBlocks: 7
; NumSGPRsForWavesPerEU: 26
; NumVGPRsForWavesPerEU: 61
; Occupancy: 16
; WaveLimiterHint : 0
; COMPUTE_PGM_RSRC2:SCRATCH_EN: 0
; COMPUTE_PGM_RSRC2:USER_SGPR: 14
; COMPUTE_PGM_RSRC2:TRAP_HANDLER: 0
; COMPUTE_PGM_RSRC2:TGID_X_EN: 1
; COMPUTE_PGM_RSRC2:TGID_Y_EN: 1
; COMPUTE_PGM_RSRC2:TGID_Z_EN: 0
; COMPUTE_PGM_RSRC2:TIDIG_COMP_CNT: 2
	.section	.text._ZN8rajaperf4apps17MassVec3DPADirectILm64EEEvPdS2_S2_S2_,"axG",@progbits,_ZN8rajaperf4apps17MassVec3DPADirectILm64EEEvPdS2_S2_S2_,comdat
	.protected	_ZN8rajaperf4apps17MassVec3DPADirectILm64EEEvPdS2_S2_S2_ ; -- Begin function _ZN8rajaperf4apps17MassVec3DPADirectILm64EEEvPdS2_S2_S2_
	.globl	_ZN8rajaperf4apps17MassVec3DPADirectILm64EEEvPdS2_S2_S2_
	.p2align	8
	.type	_ZN8rajaperf4apps17MassVec3DPADirectILm64EEEvPdS2_S2_S2_,@function
_ZN8rajaperf4apps17MassVec3DPADirectILm64EEEvPdS2_S2_S2_: ; @_ZN8rajaperf4apps17MassVec3DPADirectILm64EEEvPdS2_S2_S2_
; %bb.0:
	v_bfe_u32 v23, v0, 20, 10
	v_bfe_u32 v5, v0, 10, 10
	s_mov_b32 s12, s15
	s_mov_b32 s2, exec_lo
	s_delay_alu instid0(VALU_DEP_2)
	v_cmpx_ne_u32_e32 0, v23
	s_xor_b32 s2, exec_lo, s2
; %bb.1:
	v_bfe_u32 v5, v0, 10, 10
; %bb.2:
	s_or_saveexec_b32 s2, s2
	s_load_b256 s[4:11], s[0:1], 0x0
	s_xor_b32 exec_lo, exec_lo, s2
	s_cbranch_execz .LBB2_7
; %bb.3:
	s_mov_b32 s0, exec_lo
	v_cmpx_gt_u32_e32 3, v5
	s_cbranch_execz .LBB2_6
; %bb.4:
	v_and_b32_e32 v1, 0x3ff, v0
	s_delay_alu instid0(VALU_DEP_1)
	v_cmp_gt_u32_e32 vcc_lo, 4, v1
	s_and_b32 exec_lo, exec_lo, vcc_lo
	s_cbranch_execz .LBB2_6
; %bb.5:
	v_lshlrev_b32_e32 v4, 3, v1
	v_lshlrev_b32_e32 v6, 5, v5
	;; [unrolled: 1-line block ×3, first 2 shown]
	s_delay_alu instid0(VALU_DEP_2) | instskip(NEXT) | instid1(VALU_DEP_2)
	v_or_b32_e32 v2, v6, v4
	v_mad_u32_u24 v1, v1, 24, v7
	v_add_nc_u32_e32 v4, v6, v4
	s_waitcnt lgkmcnt(0)
	global_load_b64 v[2:3], v2, s[4:5]
	s_waitcnt vmcnt(0)
	ds_store_b64 v1, v[2:3] offset:1024
	ds_store_b64 v4, v[2:3] offset:1120
.LBB2_6:
	s_or_b32 exec_lo, exec_lo, s0
.LBB2_7:
	s_delay_alu instid0(SALU_CYCLE_1)
	s_or_b32 exec_lo, exec_lo, s2
	v_and_b32_e32 v13, 0x3ff, v0
	v_mul_u32_u24_e32 v6, 24, v5
	v_mul_lo_u32 v25, v5, 24
	v_mul_u32_u24_e32 v24, 0x48, v23
	s_mov_b32 s13, 0
	v_lshlrev_b32_e32 v22, 3, v13
	s_waitcnt lgkmcnt(0)
	v_add_co_u32 v0, s0, s8, v6
	s_delay_alu instid0(VALU_DEP_1) | instskip(SKIP_1) | instid1(VALU_DEP_3)
	v_add_co_ci_u32_e64 v1, null, s9, 0, s0
	v_cmp_lt_u32_e64 s0, 2, v5
	v_add_co_u32 v0, vcc_lo, v0, v22
	s_delay_alu instid0(VALU_DEP_3) | instskip(SKIP_3) | instid1(VALU_DEP_3)
	v_add_co_ci_u32_e32 v1, vcc_lo, 0, v1, vcc_lo
	s_mul_i32 s9, s12, 0x288
	v_cmp_lt_u32_e64 s1, 2, v13
	v_cmp_lt_u32_e32 vcc_lo, 2, v23
	v_mad_u64_u32 v[2:3], null, 0x48, v23, v[0:1]
	s_mul_hi_u32 s8, s12, 0x288
	v_add3_u32 v10, v24, v25, v22
	s_delay_alu instid0(VALU_DEP_2) | instskip(NEXT) | instid1(VALU_DEP_1)
	v_add_co_u32 v0, s2, v2, s9
	v_add_co_ci_u32_e64 v1, s2, s8, v3, s2
	s_or_b32 s2, s0, s1
	s_delay_alu instid0(SALU_CYCLE_1) | instskip(NEXT) | instid1(SALU_CYCLE_1)
	s_or_b32 s2, s2, vcc_lo
	s_xor_b32 s3, s2, -1
	s_delay_alu instid0(SALU_CYCLE_1)
	s_and_saveexec_b32 s2, s3
	s_cbranch_execz .LBB2_9
; %bb.8:
	global_load_b64 v[2:3], v[0:1], off
	s_waitcnt vmcnt(0)
	ds_store_b64 v10, v[2:3]
.LBB2_9:
	s_or_b32 exec_lo, exec_lo, s2
	v_lshlrev_b32_e32 v17, 5, v5
	v_cmp_lt_u32_e64 s2, 3, v13
	v_mad_u32_u24 v8, 0x48, v23, v25
	v_mad_u32_u24 v9, v13, 24, 0x400
	s_waitcnt lgkmcnt(0)
	v_mad_u32_u24 v2, 0x60, v23, v17
	s_or_b32 s2, s0, s2
	s_barrier
	s_or_b32 s2, s2, vcc_lo
	buffer_gl0_inv
	v_add3_u32 v7, v2, v22, 0x200
	s_xor_b32 s4, s2, -1
	s_delay_alu instid0(SALU_CYCLE_1)
	s_and_saveexec_b32 s2, s4
	s_cbranch_execz .LBB2_11
; %bb.10:
	ds_load_2addr_b64 v[18:21], v9 offset1:1
	ds_load_2addr_b64 v[26:29], v8 offset1:1
	ds_load_b64 v[2:3], v8 offset:16
	ds_load_b64 v[11:12], v9 offset:16
	s_waitcnt lgkmcnt(2)
	v_fma_f64 v[14:15], v[26:27], v[18:19], 0
	s_delay_alu instid0(VALU_DEP_1) | instskip(SKIP_1) | instid1(VALU_DEP_1)
	v_fma_f64 v[14:15], v[28:29], v[20:21], v[14:15]
	s_waitcnt lgkmcnt(0)
	v_fma_f64 v[2:3], v[2:3], v[11:12], v[14:15]
	ds_store_b64 v7, v[2:3]
.LBB2_11:
	s_or_b32 exec_lo, exec_lo, s2
	v_or_b32_e32 v4, v5, v13
	v_lshlrev_b32_e32 v18, 7, v23
	v_mul_u32_u24_e32 v12, 0x60, v23
	v_mad_u64_u32 v[2:3], null, v5, 24, 0x400
	s_delay_alu instid0(VALU_DEP_4) | instskip(NEXT) | instid1(VALU_DEP_4)
	v_cmp_gt_u32_e64 s2, 4, v4
	v_add3_u32 v11, v18, v17, v22
	s_delay_alu instid0(VALU_DEP_4)
	v_add3_u32 v12, v12, v22, 0x200
	s_xor_b32 s5, vcc_lo, -1
	s_waitcnt lgkmcnt(0)
	s_and_b32 s5, s5, s2
	s_barrier
	buffer_gl0_inv
	s_and_saveexec_b32 s2, s5
	s_cbranch_execz .LBB2_13
; %bb.12:
	ds_load_2addr_b64 v[26:29], v12 offset1:4
	ds_load_2addr_b64 v[30:33], v2 offset1:1
	ds_load_b64 v[3:4], v12 offset:64
	ds_load_b64 v[19:20], v2 offset:16
	s_waitcnt lgkmcnt(2)
	v_fma_f64 v[14:15], v[26:27], v[30:31], 0
	s_delay_alu instid0(VALU_DEP_1) | instskip(SKIP_1) | instid1(VALU_DEP_1)
	v_fma_f64 v[14:15], v[28:29], v[32:33], v[14:15]
	s_waitcnt lgkmcnt(0)
	v_fma_f64 v[3:4], v[3:4], v[19:20], v[14:15]
	ds_store_b64 v11, v[3:4]
.LBB2_13:
	s_or_b32 exec_lo, exec_lo, s2
	v_dual_mov_b32 v4, 0 :: v_dual_lshlrev_b32 v3, 2, v5
	v_add_co_u32 v14, s2, s6, v18
	s_delay_alu instid0(VALU_DEP_1) | instskip(NEXT) | instid1(VALU_DEP_3)
	v_add_co_ci_u32_e64 v15, null, s7, 0, s2
	v_lshlrev_b64 v[3:4], 3, v[3:4]
	s_lshl_b64 s[6:7], s[12:13], 9
	v_or_b32_e32 v19, v23, v5
	v_lshlrev_b32_e32 v20, 5, v23
	v_lshl_add_u32 v16, v5, 5, v22
	s_waitcnt lgkmcnt(0)
	v_add_co_u32 v3, vcc_lo, v14, v3
	v_add_co_ci_u32_e32 v4, vcc_lo, v15, v4, vcc_lo
	v_or_b32_e32 v14, v19, v13
	s_delay_alu instid0(VALU_DEP_3) | instskip(NEXT) | instid1(VALU_DEP_3)
	v_add_co_u32 v3, vcc_lo, v3, s6
	v_add_co_ci_u32_e32 v4, vcc_lo, s7, v4, vcc_lo
	v_add_nc_u32_e32 v15, v7, v20
	s_delay_alu instid0(VALU_DEP_3) | instskip(NEXT) | instid1(VALU_DEP_3)
	v_add_co_u32 v3, vcc_lo, v3, v22
	v_add_co_ci_u32_e32 v4, vcc_lo, 0, v4, vcc_lo
	v_cmp_gt_u32_e32 vcc_lo, 4, v14
	v_mad_u32_u24 v14, v23, 24, 0x400
	s_barrier
	buffer_gl0_inv
	s_and_saveexec_b32 s2, vcc_lo
	s_cbranch_execz .LBB2_15
; %bb.14:
	global_load_b64 v[20:21], v[3:4], off
	ds_load_2addr_b64 v[26:29], v16 offset1:16
	ds_load_2addr_b64 v[30:33], v14 offset1:1
	ds_load_b64 v[34:35], v16 offset:256
	s_waitcnt lgkmcnt(1)
	v_fma_f64 v[26:27], v[26:27], v[30:31], 0
	s_delay_alu instid0(VALU_DEP_1) | instskip(SKIP_4) | instid1(VALU_DEP_1)
	v_fma_f64 v[26:27], v[28:29], v[32:33], v[26:27]
	ds_load_b64 v[28:29], v14 offset:16
	s_waitcnt lgkmcnt(0)
	v_fma_f64 v[26:27], v[34:35], v[28:29], v[26:27]
	s_waitcnt vmcnt(0)
	v_mul_f64 v[20:21], v[26:27], v[20:21]
	ds_store_b64 v15, v[20:21]
.LBB2_15:
	s_or_b32 exec_lo, exec_lo, s2
	v_mul_u32_u24_e32 v20, 24, v23
	v_cmp_gt_u32_e64 s2, 4, v19
	v_mul_hi_u32_u24_e32 v26, 0x48, v23
	v_add3_u32 v18, v18, v17, 0x200
	v_lshl_add_u32 v19, v13, 5, 0x460
	v_add_nc_u32_e32 v13, v10, v20
	s_xor_b32 s6, s1, -1
	s_waitcnt lgkmcnt(0)
	s_and_b32 s6, s2, s6
	s_barrier
	buffer_gl0_inv
	s_and_saveexec_b32 s2, s6
	s_cbranch_execz .LBB2_17
; %bb.16:
	ds_load_b128 v[27:30], v19
	ds_load_b128 v[31:34], v18
	ds_load_b128 v[35:38], v18 offset:16
	ds_load_b128 v[39:42], v19 offset:16
	s_waitcnt lgkmcnt(2)
	v_fma_f64 v[20:21], v[31:32], v[27:28], 0
	s_delay_alu instid0(VALU_DEP_1) | instskip(SKIP_1) | instid1(VALU_DEP_1)
	v_fma_f64 v[20:21], v[33:34], v[29:30], v[20:21]
	s_waitcnt lgkmcnt(0)
	v_fma_f64 v[20:21], v[35:36], v[39:40], v[20:21]
	s_delay_alu instid0(VALU_DEP_1)
	v_fma_f64 v[20:21], v[37:38], v[41:42], v[20:21]
	ds_store_b64 v13, v[20:21]
.LBB2_17:
	s_or_b32 exec_lo, exec_lo, s2
	v_cmp_lt_u32_e64 s2, 3, v23
	v_add3_u32 v17, v8, v22, 0x200
	v_mad_u32_u24 v20, 0x60, v23, v22
	v_lshl_add_u32 v21, v5, 5, 0x460
	s_waitcnt lgkmcnt(0)
	s_or_b32 s0, s2, s0
	s_barrier
	s_or_b32 s0, s0, s1
	buffer_gl0_inv
	s_xor_b32 s1, s0, -1
	s_delay_alu instid0(SALU_CYCLE_1)
	s_and_saveexec_b32 s0, s1
	s_cbranch_execz .LBB2_19
; %bb.18:
	ds_load_2addr_b64 v[27:30], v20 offset1:3
	ds_load_b128 v[31:34], v21
	ds_load_b128 v[35:38], v21 offset:16
	s_waitcnt lgkmcnt(1)
	v_fma_f64 v[27:28], v[27:28], v[31:32], 0
	s_delay_alu instid0(VALU_DEP_1) | instskip(SKIP_3) | instid1(VALU_DEP_1)
	v_fma_f64 v[31:32], v[29:30], v[33:34], v[27:28]
	ds_load_2addr_b64 v[27:30], v20 offset0:6 offset1:9
	s_waitcnt lgkmcnt(0)
	v_fma_f64 v[27:28], v[27:28], v[35:36], v[31:32]
	v_fma_f64 v[27:28], v[29:30], v[37:38], v[27:28]
	ds_store_b64 v17, v[27:28]
.LBB2_19:
	s_or_b32 exec_lo, exec_lo, s0
	v_add_co_u32 v5, s0, s10, v6
	s_delay_alu instid0(VALU_DEP_1) | instskip(SKIP_1) | instid1(VALU_DEP_3)
	v_add_co_ci_u32_e64 v6, null, s11, 0, s0
	v_lshl_add_u32 v23, v23, 5, 0x460
	v_add_co_u32 v5, s0, v5, v22
	s_delay_alu instid0(VALU_DEP_1) | instskip(SKIP_1) | instid1(VALU_DEP_3)
	v_add_co_ci_u32_e64 v6, s0, 0, v6, s0
	v_add3_u32 v22, v25, v22, 0x200
	v_add_co_u32 v5, s0, v5, v24
	s_delay_alu instid0(VALU_DEP_1) | instskip(SKIP_1) | instid1(VALU_DEP_2)
	v_add_co_ci_u32_e64 v6, s0, v6, v26, s0
	s_waitcnt lgkmcnt(0)
	v_add_co_u32 v5, s0, v5, s9
	s_delay_alu instid0(VALU_DEP_1)
	v_add_co_ci_u32_e64 v6, s0, s8, v6, s0
	s_barrier
	buffer_gl0_inv
	s_and_saveexec_b32 s0, s3
	s_cbranch_execz .LBB2_21
; %bb.20:
	ds_load_2addr_b64 v[24:27], v22 offset1:9
	ds_load_b128 v[28:31], v23
	ds_load_b128 v[32:35], v23 offset:16
	s_waitcnt lgkmcnt(1)
	v_fma_f64 v[24:25], v[24:25], v[28:29], 0
	s_delay_alu instid0(VALU_DEP_1) | instskip(SKIP_3) | instid1(VALU_DEP_1)
	v_fma_f64 v[28:29], v[26:27], v[30:31], v[24:25]
	ds_load_2addr_b64 v[24:27], v22 offset0:18 offset1:27
	s_waitcnt lgkmcnt(0)
	v_fma_f64 v[24:25], v[24:25], v[32:33], v[28:29]
	v_fma_f64 v[24:25], v[26:27], v[34:35], v[24:25]
	global_store_b64 v[5:6], v[24:25], off
.LBB2_21:
	s_or_b32 exec_lo, exec_lo, s0
	s_waitcnt_vscnt null, 0x0
	s_barrier
	buffer_gl0_inv
	s_and_saveexec_b32 s0, s3
	s_cbranch_execz .LBB2_23
; %bb.22:
	global_load_b64 v[24:25], v[0:1], off offset:216
	s_waitcnt vmcnt(0)
	ds_store_b64 v10, v[24:25]
.LBB2_23:
	s_or_b32 exec_lo, exec_lo, s0
	s_waitcnt lgkmcnt(0)
	s_barrier
	buffer_gl0_inv
	s_and_saveexec_b32 s0, s4
	s_cbranch_execz .LBB2_25
; %bb.24:
	ds_load_2addr_b64 v[24:27], v9 offset1:1
	ds_load_2addr_b64 v[28:31], v8 offset1:1
	ds_load_b64 v[32:33], v8 offset:16
	ds_load_b64 v[34:35], v9 offset:16
	s_waitcnt lgkmcnt(2)
	v_fma_f64 v[24:25], v[28:29], v[24:25], 0
	s_delay_alu instid0(VALU_DEP_1) | instskip(SKIP_1) | instid1(VALU_DEP_1)
	v_fma_f64 v[24:25], v[30:31], v[26:27], v[24:25]
	s_waitcnt lgkmcnt(0)
	v_fma_f64 v[24:25], v[32:33], v[34:35], v[24:25]
	ds_store_b64 v7, v[24:25]
.LBB2_25:
	s_or_b32 exec_lo, exec_lo, s0
	s_waitcnt lgkmcnt(0)
	s_barrier
	buffer_gl0_inv
	s_and_saveexec_b32 s0, s5
	s_cbranch_execz .LBB2_27
; %bb.26:
	ds_load_2addr_b64 v[24:27], v12 offset1:4
	ds_load_2addr_b64 v[28:31], v2 offset1:1
	ds_load_b64 v[32:33], v12 offset:64
	s_waitcnt lgkmcnt(1)
	v_fma_f64 v[24:25], v[24:25], v[28:29], 0
	s_delay_alu instid0(VALU_DEP_1)
	v_fma_f64 v[24:25], v[26:27], v[30:31], v[24:25]
	ds_load_b64 v[26:27], v2 offset:16
	s_waitcnt lgkmcnt(0)
	v_fma_f64 v[24:25], v[32:33], v[26:27], v[24:25]
	ds_store_b64 v11, v[24:25]
.LBB2_27:
	s_or_b32 exec_lo, exec_lo, s0
	s_waitcnt lgkmcnt(0)
	s_barrier
	buffer_gl0_inv
	s_and_saveexec_b32 s0, vcc_lo
	s_cbranch_execz .LBB2_29
; %bb.28:
	global_load_b64 v[32:33], v[3:4], off
	ds_load_2addr_b64 v[24:27], v16 offset1:16
	ds_load_2addr_b64 v[28:31], v14 offset1:1
	ds_load_b64 v[34:35], v16 offset:256
	s_waitcnt lgkmcnt(1)
	v_fma_f64 v[24:25], v[24:25], v[28:29], 0
	s_delay_alu instid0(VALU_DEP_1) | instskip(SKIP_4) | instid1(VALU_DEP_1)
	v_fma_f64 v[24:25], v[26:27], v[30:31], v[24:25]
	ds_load_b64 v[26:27], v14 offset:16
	s_waitcnt lgkmcnt(0)
	v_fma_f64 v[24:25], v[34:35], v[26:27], v[24:25]
	s_waitcnt vmcnt(0)
	v_mul_f64 v[24:25], v[24:25], v[32:33]
	ds_store_b64 v15, v[24:25]
.LBB2_29:
	s_or_b32 exec_lo, exec_lo, s0
	s_waitcnt lgkmcnt(0)
	s_barrier
	buffer_gl0_inv
	s_and_saveexec_b32 s0, s6
	s_cbranch_execz .LBB2_31
; %bb.30:
	ds_load_b128 v[24:27], v19
	ds_load_b128 v[28:31], v18
	ds_load_b128 v[32:35], v18 offset:16
	ds_load_b128 v[36:39], v19 offset:16
	s_waitcnt lgkmcnt(2)
	v_fma_f64 v[24:25], v[28:29], v[24:25], 0
	s_delay_alu instid0(VALU_DEP_1) | instskip(SKIP_1) | instid1(VALU_DEP_1)
	v_fma_f64 v[24:25], v[30:31], v[26:27], v[24:25]
	s_waitcnt lgkmcnt(0)
	v_fma_f64 v[24:25], v[32:33], v[36:37], v[24:25]
	s_delay_alu instid0(VALU_DEP_1)
	v_fma_f64 v[24:25], v[34:35], v[38:39], v[24:25]
	ds_store_b64 v13, v[24:25]
.LBB2_31:
	s_or_b32 exec_lo, exec_lo, s0
	s_waitcnt lgkmcnt(0)
	s_barrier
	buffer_gl0_inv
	s_and_saveexec_b32 s0, s1
	s_cbranch_execz .LBB2_33
; %bb.32:
	ds_load_2addr_b64 v[24:27], v20 offset1:3
	ds_load_b128 v[28:31], v21
	ds_load_b128 v[32:35], v21 offset:16
	s_waitcnt lgkmcnt(1)
	v_fma_f64 v[24:25], v[24:25], v[28:29], 0
	s_delay_alu instid0(VALU_DEP_1) | instskip(SKIP_3) | instid1(VALU_DEP_1)
	v_fma_f64 v[28:29], v[26:27], v[30:31], v[24:25]
	ds_load_2addr_b64 v[24:27], v20 offset0:6 offset1:9
	s_waitcnt lgkmcnt(0)
	v_fma_f64 v[24:25], v[24:25], v[32:33], v[28:29]
	v_fma_f64 v[24:25], v[26:27], v[34:35], v[24:25]
	ds_store_b64 v17, v[24:25]
.LBB2_33:
	s_or_b32 exec_lo, exec_lo, s0
	s_waitcnt lgkmcnt(0)
	s_barrier
	buffer_gl0_inv
	s_and_saveexec_b32 s0, s3
	s_cbranch_execz .LBB2_35
; %bb.34:
	ds_load_2addr_b64 v[24:27], v22 offset1:9
	ds_load_b128 v[28:31], v23
	ds_load_b128 v[32:35], v23 offset:16
	s_waitcnt lgkmcnt(1)
	v_fma_f64 v[24:25], v[24:25], v[28:29], 0
	s_delay_alu instid0(VALU_DEP_1) | instskip(SKIP_3) | instid1(VALU_DEP_1)
	v_fma_f64 v[28:29], v[26:27], v[30:31], v[24:25]
	ds_load_2addr_b64 v[24:27], v22 offset0:18 offset1:27
	s_waitcnt lgkmcnt(0)
	v_fma_f64 v[24:25], v[24:25], v[32:33], v[28:29]
	v_fma_f64 v[24:25], v[26:27], v[34:35], v[24:25]
	global_store_b64 v[5:6], v[24:25], off offset:216
.LBB2_35:
	s_or_b32 exec_lo, exec_lo, s0
	s_waitcnt_vscnt null, 0x0
	s_barrier
	buffer_gl0_inv
	s_and_saveexec_b32 s0, s3
	s_cbranch_execz .LBB2_37
; %bb.36:
	global_load_b64 v[0:1], v[0:1], off offset:432
	s_waitcnt vmcnt(0)
	ds_store_b64 v10, v[0:1]
.LBB2_37:
	s_or_b32 exec_lo, exec_lo, s0
	s_waitcnt lgkmcnt(0)
	s_barrier
	buffer_gl0_inv
	s_and_saveexec_b32 s0, s4
	s_cbranch_execz .LBB2_39
; %bb.38:
	ds_load_2addr_b64 v[24:27], v9 offset1:1
	ds_load_2addr_b64 v[28:31], v8 offset1:1
	ds_load_b64 v[0:1], v8 offset:16
	ds_load_b64 v[8:9], v9 offset:16
	s_waitcnt lgkmcnt(2)
	v_fma_f64 v[24:25], v[28:29], v[24:25], 0
	s_delay_alu instid0(VALU_DEP_1) | instskip(SKIP_1) | instid1(VALU_DEP_1)
	v_fma_f64 v[24:25], v[30:31], v[26:27], v[24:25]
	s_waitcnt lgkmcnt(0)
	v_fma_f64 v[0:1], v[0:1], v[8:9], v[24:25]
	ds_store_b64 v7, v[0:1]
.LBB2_39:
	s_or_b32 exec_lo, exec_lo, s0
	s_waitcnt lgkmcnt(0)
	s_barrier
	buffer_gl0_inv
	s_and_saveexec_b32 s0, s5
	s_cbranch_execz .LBB2_41
; %bb.40:
	ds_load_2addr_b64 v[7:10], v12 offset1:4
	ds_load_2addr_b64 v[24:27], v2 offset1:1
	ds_load_b64 v[0:1], v12 offset:64
	s_waitcnt lgkmcnt(1)
	v_fma_f64 v[7:8], v[7:8], v[24:25], 0
	s_delay_alu instid0(VALU_DEP_1)
	v_fma_f64 v[7:8], v[9:10], v[26:27], v[7:8]
	ds_load_b64 v[9:10], v2 offset:16
	s_waitcnt lgkmcnt(0)
	v_fma_f64 v[0:1], v[0:1], v[9:10], v[7:8]
	ds_store_b64 v11, v[0:1]
.LBB2_41:
	s_or_b32 exec_lo, exec_lo, s0
	s_waitcnt lgkmcnt(0)
	s_barrier
	buffer_gl0_inv
	s_and_saveexec_b32 s0, vcc_lo
	s_cbranch_execz .LBB2_43
; %bb.42:
	global_load_b64 v[11:12], v[3:4], off
	ds_load_2addr_b64 v[0:3], v16 offset1:16
	ds_load_2addr_b64 v[7:10], v14 offset1:1
	ds_load_b64 v[24:25], v16 offset:256
	s_waitcnt lgkmcnt(1)
	v_fma_f64 v[0:1], v[0:1], v[7:8], 0
	s_delay_alu instid0(VALU_DEP_1) | instskip(SKIP_4) | instid1(VALU_DEP_1)
	v_fma_f64 v[0:1], v[2:3], v[9:10], v[0:1]
	ds_load_b64 v[2:3], v14 offset:16
	s_waitcnt lgkmcnt(0)
	v_fma_f64 v[0:1], v[24:25], v[2:3], v[0:1]
	s_waitcnt vmcnt(0)
	v_mul_f64 v[0:1], v[0:1], v[11:12]
	ds_store_b64 v15, v[0:1]
.LBB2_43:
	s_or_b32 exec_lo, exec_lo, s0
	s_waitcnt lgkmcnt(0)
	s_barrier
	buffer_gl0_inv
	s_and_saveexec_b32 s0, s6
	s_cbranch_execz .LBB2_45
; %bb.44:
	ds_load_b128 v[0:3], v19
	ds_load_b128 v[7:10], v18
	ds_load_b128 v[24:27], v18 offset:16
	ds_load_b128 v[28:31], v19 offset:16
	s_waitcnt lgkmcnt(2)
	v_fma_f64 v[0:1], v[7:8], v[0:1], 0
	s_delay_alu instid0(VALU_DEP_1) | instskip(SKIP_1) | instid1(VALU_DEP_1)
	v_fma_f64 v[0:1], v[9:10], v[2:3], v[0:1]
	s_waitcnt lgkmcnt(0)
	v_fma_f64 v[0:1], v[24:25], v[28:29], v[0:1]
	s_delay_alu instid0(VALU_DEP_1)
	v_fma_f64 v[0:1], v[26:27], v[30:31], v[0:1]
	ds_store_b64 v13, v[0:1]
.LBB2_45:
	s_or_b32 exec_lo, exec_lo, s0
	s_waitcnt lgkmcnt(0)
	s_barrier
	buffer_gl0_inv
	s_and_saveexec_b32 s0, s1
	s_cbranch_execz .LBB2_47
; %bb.46:
	ds_load_2addr_b64 v[0:3], v20 offset1:3
	ds_load_b128 v[7:10], v21
	ds_load_b128 v[11:14], v21 offset:16
	s_waitcnt lgkmcnt(1)
	v_fma_f64 v[0:1], v[0:1], v[7:8], 0
	s_delay_alu instid0(VALU_DEP_1) | instskip(SKIP_3) | instid1(VALU_DEP_1)
	v_fma_f64 v[7:8], v[2:3], v[9:10], v[0:1]
	ds_load_2addr_b64 v[0:3], v20 offset0:6 offset1:9
	s_waitcnt lgkmcnt(0)
	v_fma_f64 v[0:1], v[0:1], v[11:12], v[7:8]
	v_fma_f64 v[0:1], v[2:3], v[13:14], v[0:1]
	ds_store_b64 v17, v[0:1]
.LBB2_47:
	s_or_b32 exec_lo, exec_lo, s0
	s_waitcnt lgkmcnt(0)
	s_barrier
	buffer_gl0_inv
	s_and_saveexec_b32 s0, s3
	s_cbranch_execz .LBB2_49
; %bb.48:
	ds_load_2addr_b64 v[0:3], v22 offset1:9
	ds_load_b128 v[7:10], v23
	ds_load_b128 v[11:14], v23 offset:16
	s_waitcnt lgkmcnt(1)
	v_fma_f64 v[0:1], v[0:1], v[7:8], 0
	s_delay_alu instid0(VALU_DEP_1) | instskip(SKIP_3) | instid1(VALU_DEP_1)
	v_fma_f64 v[7:8], v[2:3], v[9:10], v[0:1]
	ds_load_2addr_b64 v[0:3], v22 offset0:18 offset1:27
	s_waitcnt lgkmcnt(0)
	v_fma_f64 v[0:1], v[0:1], v[11:12], v[7:8]
	v_fma_f64 v[0:1], v[2:3], v[13:14], v[0:1]
	global_store_b64 v[5:6], v[0:1], off offset:432
.LBB2_49:
	s_or_b32 exec_lo, exec_lo, s0
	s_waitcnt_vscnt null, 0x0
	s_barrier
	buffer_gl0_inv
	s_endpgm
	.section	.rodata,"a",@progbits
	.p2align	6, 0x0
	.amdhsa_kernel _ZN8rajaperf4apps17MassVec3DPADirectILm64EEEvPdS2_S2_S2_
		.amdhsa_group_segment_fixed_size 1216
		.amdhsa_private_segment_fixed_size 0
		.amdhsa_kernarg_size 32
		.amdhsa_user_sgpr_count 15
		.amdhsa_user_sgpr_dispatch_ptr 0
		.amdhsa_user_sgpr_queue_ptr 0
		.amdhsa_user_sgpr_kernarg_segment_ptr 1
		.amdhsa_user_sgpr_dispatch_id 0
		.amdhsa_user_sgpr_private_segment_size 0
		.amdhsa_wavefront_size32 1
		.amdhsa_uses_dynamic_stack 0
		.amdhsa_enable_private_segment 0
		.amdhsa_system_sgpr_workgroup_id_x 1
		.amdhsa_system_sgpr_workgroup_id_y 0
		.amdhsa_system_sgpr_workgroup_id_z 0
		.amdhsa_system_sgpr_workgroup_info 0
		.amdhsa_system_vgpr_workitem_id 2
		.amdhsa_next_free_vgpr 43
		.amdhsa_next_free_sgpr 16
		.amdhsa_reserve_vcc 1
		.amdhsa_float_round_mode_32 0
		.amdhsa_float_round_mode_16_64 0
		.amdhsa_float_denorm_mode_32 3
		.amdhsa_float_denorm_mode_16_64 3
		.amdhsa_dx10_clamp 1
		.amdhsa_ieee_mode 1
		.amdhsa_fp16_overflow 0
		.amdhsa_workgroup_processor_mode 1
		.amdhsa_memory_ordered 1
		.amdhsa_forward_progress 0
		.amdhsa_shared_vgpr_count 0
		.amdhsa_exception_fp_ieee_invalid_op 0
		.amdhsa_exception_fp_denorm_src 0
		.amdhsa_exception_fp_ieee_div_zero 0
		.amdhsa_exception_fp_ieee_overflow 0
		.amdhsa_exception_fp_ieee_underflow 0
		.amdhsa_exception_fp_ieee_inexact 0
		.amdhsa_exception_int_div_zero 0
	.end_amdhsa_kernel
	.section	.text._ZN8rajaperf4apps17MassVec3DPADirectILm64EEEvPdS2_S2_S2_,"axG",@progbits,_ZN8rajaperf4apps17MassVec3DPADirectILm64EEEvPdS2_S2_S2_,comdat
.Lfunc_end2:
	.size	_ZN8rajaperf4apps17MassVec3DPADirectILm64EEEvPdS2_S2_S2_, .Lfunc_end2-_ZN8rajaperf4apps17MassVec3DPADirectILm64EEEvPdS2_S2_S2_
                                        ; -- End function
	.section	.AMDGPU.csdata,"",@progbits
; Kernel info:
; codeLenInByte = 3004
; NumSgprs: 18
; NumVgprs: 43
; ScratchSize: 0
; MemoryBound: 1
; FloatMode: 240
; IeeeMode: 1
; LDSByteSize: 1216 bytes/workgroup (compile time only)
; SGPRBlocks: 2
; VGPRBlocks: 5
; NumSGPRsForWavesPerEU: 18
; NumVGPRsForWavesPerEU: 43
; Occupancy: 16
; WaveLimiterHint : 0
; COMPUTE_PGM_RSRC2:SCRATCH_EN: 0
; COMPUTE_PGM_RSRC2:USER_SGPR: 15
; COMPUTE_PGM_RSRC2:TRAP_HANDLER: 0
; COMPUTE_PGM_RSRC2:TGID_X_EN: 1
; COMPUTE_PGM_RSRC2:TGID_Y_EN: 0
; COMPUTE_PGM_RSRC2:TGID_Z_EN: 0
; COMPUTE_PGM_RSRC2:TIDIG_COMP_CNT: 2
	.section	.text._ZN4RAJA34launch_new_reduce_global_fcn_fixedIZN8rajaperf4apps11MASSVEC3DPA17runHipVariantImplILm64ELm1EEEvNS1_9VariantIDEEUlNS_14LaunchContextTINS_3hip33LaunchContextIndicesAndDimsPolicyINS7_14IndicesAndDimsILb0ELb0ELb0ELb0EEEEEEEE_Li64ENS_4expt15ForallParamPackIJEEEEEvT_T1_,"axG",@progbits,_ZN4RAJA34launch_new_reduce_global_fcn_fixedIZN8rajaperf4apps11MASSVEC3DPA17runHipVariantImplILm64ELm1EEEvNS1_9VariantIDEEUlNS_14LaunchContextTINS_3hip33LaunchContextIndicesAndDimsPolicyINS7_14IndicesAndDimsILb0ELb0ELb0ELb0EEEEEEEE_Li64ENS_4expt15ForallParamPackIJEEEEEvT_T1_,comdat
	.protected	_ZN4RAJA34launch_new_reduce_global_fcn_fixedIZN8rajaperf4apps11MASSVEC3DPA17runHipVariantImplILm64ELm1EEEvNS1_9VariantIDEEUlNS_14LaunchContextTINS_3hip33LaunchContextIndicesAndDimsPolicyINS7_14IndicesAndDimsILb0ELb0ELb0ELb0EEEEEEEE_Li64ENS_4expt15ForallParamPackIJEEEEEvT_T1_ ; -- Begin function _ZN4RAJA34launch_new_reduce_global_fcn_fixedIZN8rajaperf4apps11MASSVEC3DPA17runHipVariantImplILm64ELm1EEEvNS1_9VariantIDEEUlNS_14LaunchContextTINS_3hip33LaunchContextIndicesAndDimsPolicyINS7_14IndicesAndDimsILb0ELb0ELb0ELb0EEEEEEEE_Li64ENS_4expt15ForallParamPackIJEEEEEvT_T1_
	.globl	_ZN4RAJA34launch_new_reduce_global_fcn_fixedIZN8rajaperf4apps11MASSVEC3DPA17runHipVariantImplILm64ELm1EEEvNS1_9VariantIDEEUlNS_14LaunchContextTINS_3hip33LaunchContextIndicesAndDimsPolicyINS7_14IndicesAndDimsILb0ELb0ELb0ELb0EEEEEEEE_Li64ENS_4expt15ForallParamPackIJEEEEEvT_T1_
	.p2align	8
	.type	_ZN4RAJA34launch_new_reduce_global_fcn_fixedIZN8rajaperf4apps11MASSVEC3DPA17runHipVariantImplILm64ELm1EEEvNS1_9VariantIDEEUlNS_14LaunchContextTINS_3hip33LaunchContextIndicesAndDimsPolicyINS7_14IndicesAndDimsILb0ELb0ELb0ELb0EEEEEEEE_Li64ENS_4expt15ForallParamPackIJEEEEEvT_T1_,@function
_ZN4RAJA34launch_new_reduce_global_fcn_fixedIZN8rajaperf4apps11MASSVEC3DPA17runHipVariantImplILm64ELm1EEEvNS1_9VariantIDEEUlNS_14LaunchContextTINS_3hip33LaunchContextIndicesAndDimsPolicyINS7_14IndicesAndDimsILb0ELb0ELb0ELb0EEEEEEEE_Li64ENS_4expt15ForallParamPackIJEEEEEvT_T1_: ; @_ZN4RAJA34launch_new_reduce_global_fcn_fixedIZN8rajaperf4apps11MASSVEC3DPA17runHipVariantImplILm64ELm1EEEvNS1_9VariantIDEEUlNS_14LaunchContextTINS_3hip33LaunchContextIndicesAndDimsPolicyINS7_14IndicesAndDimsILb0ELb0ELb0ELb0EEEEEEEE_Li64ENS_4expt15ForallParamPackIJEEEEEvT_T1_
; %bb.0:
	s_load_b256 s[4:11], s[0:1], 0x0
	s_mov_b32 s12, s15
	s_mov_b32 s13, 0
	s_waitcnt lgkmcnt(0)
	v_cmp_le_i64_e64 s2, s[4:5], s[12:13]
	s_delay_alu instid0(VALU_DEP_1)
	s_and_b32 vcc_lo, exec_lo, s2
	s_cbranch_vccnz .LBB3_51
; %bb.1:
	s_load_b64 s[4:5], s[0:1], 0x20
	v_bfe_u32 v23, v0, 20, 10
	v_bfe_u32 v5, v0, 10, 10
	s_mov_b32 s0, exec_lo
	s_delay_alu instid0(VALU_DEP_2)
	v_cmpx_ne_u32_e32 0, v23
	s_xor_b32 s0, exec_lo, s0
; %bb.2:
	v_bfe_u32 v5, v0, 10, 10
; %bb.3:
	s_and_not1_saveexec_b32 s0, s0
	s_cbranch_execz .LBB3_8
; %bb.4:
	s_mov_b32 s1, exec_lo
	s_delay_alu instid0(VALU_DEP_1)
	v_cmpx_gt_u32_e32 3, v5
	s_cbranch_execz .LBB3_7
; %bb.5:
	v_and_b32_e32 v1, 0x3ff, v0
	s_delay_alu instid0(VALU_DEP_1)
	v_cmp_gt_u32_e32 vcc_lo, 4, v1
	s_and_b32 exec_lo, exec_lo, vcc_lo
	s_cbranch_execz .LBB3_7
; %bb.6:
	v_lshlrev_b32_e32 v4, 5, v5
	v_lshlrev_b32_e32 v6, 3, v1
	;; [unrolled: 1-line block ×3, first 2 shown]
	s_delay_alu instid0(VALU_DEP_3) | instskip(NEXT) | instid1(VALU_DEP_1)
	v_add_co_u32 v2, s2, s6, v4
	v_add_co_ci_u32_e64 v3, null, s7, 0, s2
	s_delay_alu instid0(VALU_DEP_3) | instskip(NEXT) | instid1(VALU_DEP_3)
	v_mad_u32_u24 v1, v1, 24, v7
	v_add_co_u32 v2, vcc_lo, v2, v6
	s_delay_alu instid0(VALU_DEP_3)
	v_add_co_ci_u32_e32 v3, vcc_lo, 0, v3, vcc_lo
	v_add_nc_u32_e32 v4, v4, v6
	global_load_b64 v[2:3], v[2:3], off
	s_waitcnt vmcnt(0)
	ds_store_b64 v1, v[2:3] offset:1024
	ds_store_b64 v4, v[2:3] offset:1120
.LBB3_7:
	s_or_b32 exec_lo, exec_lo, s1
.LBB3_8:
	s_delay_alu instid0(SALU_CYCLE_1) | instskip(SKIP_4) | instid1(VALU_DEP_4)
	s_or_b32 exec_lo, exec_lo, s0
	v_and_b32_e32 v15, 0x3ff, v0
	v_mad_u64_u32 v[0:1], null, v5, 24, s[8:9]
	v_mul_lo_u32 v25, v5, 24
	v_cmp_lt_u32_e64 s0, 2, v5
	v_lshlrev_b32_e32 v22, 3, v15
	v_cmp_lt_u32_e64 s1, 2, v15
	v_mul_u32_u24_e32 v24, 0x48, v23
	s_mul_i32 s14, s12, 0x288
	s_mul_hi_u32 s9, s12, 0x288
	v_add_co_u32 v0, vcc_lo, v0, v22
	v_add_co_ci_u32_e32 v1, vcc_lo, 0, v1, vcc_lo
	v_cmp_lt_u32_e32 vcc_lo, 2, v23
	s_or_b32 s3, s1, s0
	v_add3_u32 v10, v24, v25, v22
	s_delay_alu instid0(VALU_DEP_3) | instskip(NEXT) | instid1(VALU_DEP_1)
	v_mad_u64_u32 v[2:3], null, 0x48, v23, v[0:1]
	v_add_co_u32 v0, s2, v2, s14
	s_delay_alu instid0(VALU_DEP_1) | instskip(SKIP_1) | instid1(SALU_CYCLE_1)
	v_add_co_ci_u32_e64 v1, s2, s9, v3, s2
	s_or_b32 s2, vcc_lo, s3
	s_xor_b32 s3, s2, -1
	s_delay_alu instid0(SALU_CYCLE_1)
	s_and_saveexec_b32 s2, s3
	s_cbranch_execz .LBB3_10
; %bb.9:
	global_load_b64 v[2:3], v[0:1], off
	s_waitcnt vmcnt(0)
	ds_store_b64 v10, v[2:3]
.LBB3_10:
	s_or_b32 exec_lo, exec_lo, s2
	v_lshlrev_b32_e32 v17, 5, v5
	v_cmp_lt_u32_e64 s2, 3, v15
	v_mad_u32_u24 v7, 0x48, v23, v25
	v_mad_u32_u24 v9, v15, 24, 0x400
	s_waitcnt lgkmcnt(0)
	v_mad_u32_u24 v2, 0x60, v23, v17
	s_or_b32 s2, s2, s0
	s_barrier
	s_or_b32 s2, vcc_lo, s2
	buffer_gl0_inv
	v_add3_u32 v8, v2, v22, 0x200
	s_xor_b32 s6, s2, -1
	s_delay_alu instid0(SALU_CYCLE_1)
	s_and_saveexec_b32 s2, s6
	s_cbranch_execz .LBB3_12
; %bb.11:
	ds_load_2addr_b64 v[11:14], v9 offset1:1
	ds_load_2addr_b64 v[18:21], v7 offset1:1
	ds_load_b64 v[2:3], v7 offset:16
	ds_load_b64 v[26:27], v9 offset:16
	s_waitcnt lgkmcnt(2)
	v_fma_f64 v[11:12], v[18:19], v[11:12], 0
	s_delay_alu instid0(VALU_DEP_1) | instskip(SKIP_1) | instid1(VALU_DEP_1)
	v_fma_f64 v[11:12], v[20:21], v[13:14], v[11:12]
	s_waitcnt lgkmcnt(0)
	v_fma_f64 v[2:3], v[2:3], v[26:27], v[11:12]
	ds_store_b64 v8, v[2:3]
.LBB3_12:
	s_or_b32 exec_lo, exec_lo, s2
	v_or_b32_e32 v4, v5, v15
	v_mul_u32_u24_e32 v20, 0x60, v23
	v_lshlrev_b32_e32 v18, 7, v23
	v_mad_u64_u32 v[2:3], null, v5, 24, 0x400
	s_delay_alu instid0(VALU_DEP_4) | instskip(NEXT) | instid1(VALU_DEP_4)
	v_cmp_gt_u32_e64 s2, 4, v4
	v_add3_u32 v12, v20, v22, 0x200
	s_delay_alu instid0(VALU_DEP_4)
	v_add3_u32 v11, v18, v17, v22
	s_xor_b32 s7, vcc_lo, -1
	s_waitcnt lgkmcnt(0)
	s_and_b32 s7, s7, s2
	s_barrier
	buffer_gl0_inv
	s_and_saveexec_b32 s2, s7
	s_cbranch_execz .LBB3_14
; %bb.13:
	ds_load_2addr_b64 v[26:29], v12 offset1:4
	ds_load_2addr_b64 v[30:33], v2 offset1:1
	ds_load_b64 v[3:4], v12 offset:64
	s_waitcnt lgkmcnt(1)
	v_fma_f64 v[13:14], v[26:27], v[30:31], 0
	ds_load_b64 v[26:27], v2 offset:16
	v_fma_f64 v[13:14], v[28:29], v[32:33], v[13:14]
	s_waitcnt lgkmcnt(0)
	s_delay_alu instid0(VALU_DEP_1)
	v_fma_f64 v[3:4], v[3:4], v[26:27], v[13:14]
	ds_store_b64 v11, v[3:4]
.LBB3_14:
	s_or_b32 exec_lo, exec_lo, s2
	v_mov_b32_e32 v6, 0
	v_or_b32_e32 v19, v5, v23
	s_lshl_b64 s[12:13], s[12:13], 9
	v_lshl_add_u32 v14, v5, 5, v22
	v_mad_u32_u24 v13, v23, 24, 0x400
	v_lshlrev_b64 v[3:4], 5, v[5:6]
	v_lshlrev_b32_e32 v6, 5, v23
	v_or_b32_e32 v16, v19, v15
	s_waitcnt lgkmcnt(0)
	s_barrier
	buffer_gl0_inv
	v_add_co_u32 v3, vcc_lo, s10, v3
	v_add_co_ci_u32_e32 v4, vcc_lo, s11, v4, vcc_lo
	s_delay_alu instid0(VALU_DEP_2) | instskip(NEXT) | instid1(VALU_DEP_2)
	v_add_co_u32 v3, vcc_lo, v3, v22
	v_add_co_ci_u32_e32 v4, vcc_lo, 0, v4, vcc_lo
	s_delay_alu instid0(VALU_DEP_2) | instskip(NEXT) | instid1(VALU_DEP_2)
	v_add_co_u32 v3, vcc_lo, v3, v18
	v_add_co_ci_u32_e32 v4, vcc_lo, 0, v4, vcc_lo
	v_cmp_gt_u32_e32 vcc_lo, 4, v16
	s_delay_alu instid0(VALU_DEP_3) | instskip(NEXT) | instid1(VALU_DEP_1)
	v_add_co_u32 v3, s2, v3, s12
	v_add_co_ci_u32_e64 v4, s2, s13, v4, s2
	v_add_nc_u32_e32 v16, v8, v6
	s_and_saveexec_b32 s2, vcc_lo
	s_cbranch_execz .LBB3_16
; %bb.15:
	global_load_b64 v[34:35], v[3:4], off
	ds_load_2addr_b64 v[26:29], v14 offset1:16
	ds_load_2addr_b64 v[30:33], v13 offset1:1
	ds_load_b64 v[36:37], v14 offset:256
	s_waitcnt lgkmcnt(1)
	v_fma_f64 v[26:27], v[26:27], v[30:31], 0
	s_delay_alu instid0(VALU_DEP_1) | instskip(SKIP_4) | instid1(VALU_DEP_1)
	v_fma_f64 v[26:27], v[28:29], v[32:33], v[26:27]
	ds_load_b64 v[28:29], v13 offset:16
	s_waitcnt lgkmcnt(0)
	v_fma_f64 v[26:27], v[36:37], v[28:29], v[26:27]
	s_waitcnt vmcnt(0)
	v_mul_f64 v[26:27], v[34:35], v[26:27]
	ds_store_b64 v16, v[26:27]
.LBB3_16:
	s_or_b32 exec_lo, exec_lo, s2
	v_cmp_gt_u32_e64 s2, 4, v19
	v_mul_hi_u32_u24_e32 v26, 24, v5
	v_mul_u32_u24_e32 v27, 24, v5
	v_mul_hi_u32_u24_e32 v6, 0x48, v23
	v_add3_u32 v18, v18, v17, 0x200
	v_lshl_add_u32 v19, v15, 5, 0x460
	v_add3_u32 v15, v20, v25, v22
	s_xor_b32 s8, s1, -1
	s_waitcnt lgkmcnt(0)
	s_and_b32 s8, s8, s2
	s_barrier
	buffer_gl0_inv
	s_and_saveexec_b32 s2, s8
	s_cbranch_execz .LBB3_18
; %bb.17:
	ds_load_b128 v[28:31], v19
	ds_load_b128 v[32:35], v18
	ds_load_b128 v[36:39], v18 offset:16
	ds_load_b128 v[40:43], v19 offset:16
	s_waitcnt lgkmcnt(2)
	v_fma_f64 v[20:21], v[32:33], v[28:29], 0
	s_delay_alu instid0(VALU_DEP_1) | instskip(SKIP_1) | instid1(VALU_DEP_1)
	v_fma_f64 v[20:21], v[34:35], v[30:31], v[20:21]
	s_waitcnt lgkmcnt(0)
	v_fma_f64 v[20:21], v[36:37], v[40:41], v[20:21]
	s_delay_alu instid0(VALU_DEP_1)
	v_fma_f64 v[20:21], v[38:39], v[42:43], v[20:21]
	ds_store_b64 v15, v[20:21]
.LBB3_18:
	s_or_b32 exec_lo, exec_lo, s2
	v_cmp_lt_u32_e64 s2, 3, v23
	v_mad_u32_u24 v20, 0x60, v23, v22
	v_lshl_add_u32 v21, v5, 5, 0x460
	v_add3_u32 v17, v7, v22, 0x200
	s_waitcnt lgkmcnt(0)
	s_or_b32 s0, s2, s0
	s_barrier
	s_or_b32 s0, s1, s0
	buffer_gl0_inv
	s_xor_b32 s1, s0, -1
	s_delay_alu instid0(SALU_CYCLE_1)
	s_and_saveexec_b32 s0, s1
	s_cbranch_execz .LBB3_20
; %bb.19:
	ds_load_2addr_b64 v[28:31], v20 offset1:3
	ds_load_b128 v[32:35], v21
	ds_load_b128 v[36:39], v21 offset:16
	s_waitcnt lgkmcnt(1)
	v_fma_f64 v[28:29], v[28:29], v[32:33], 0
	s_delay_alu instid0(VALU_DEP_1) | instskip(SKIP_3) | instid1(VALU_DEP_1)
	v_fma_f64 v[32:33], v[30:31], v[34:35], v[28:29]
	ds_load_2addr_b64 v[28:31], v20 offset0:6 offset1:9
	s_waitcnt lgkmcnt(0)
	v_fma_f64 v[28:29], v[28:29], v[36:37], v[32:33]
	v_fma_f64 v[28:29], v[30:31], v[38:39], v[28:29]
	ds_store_b64 v17, v[28:29]
.LBB3_20:
	s_or_b32 exec_lo, exec_lo, s0
	v_add_co_u32 v5, s0, s4, v27
	s_delay_alu instid0(VALU_DEP_1) | instskip(SKIP_1) | instid1(VALU_DEP_3)
	v_add_co_ci_u32_e64 v26, s0, s5, v26, s0
	v_lshl_add_u32 v23, v23, 5, 0x460
	v_add_co_u32 v5, s0, v5, v22
	s_delay_alu instid0(VALU_DEP_1) | instskip(SKIP_1) | instid1(VALU_DEP_3)
	v_add_co_ci_u32_e64 v26, s0, 0, v26, s0
	v_add3_u32 v22, v25, v22, 0x200
	v_add_co_u32 v5, s0, v5, v24
	s_delay_alu instid0(VALU_DEP_1) | instskip(SKIP_1) | instid1(VALU_DEP_2)
	v_add_co_ci_u32_e64 v6, s0, v26, v6, s0
	s_waitcnt lgkmcnt(0)
	v_add_co_u32 v5, s0, v5, s14
	s_delay_alu instid0(VALU_DEP_1)
	v_add_co_ci_u32_e64 v6, s0, s9, v6, s0
	s_barrier
	buffer_gl0_inv
	s_and_saveexec_b32 s0, s3
	s_cbranch_execz .LBB3_22
; %bb.21:
	ds_load_2addr_b64 v[24:27], v22 offset1:9
	ds_load_b128 v[28:31], v23
	ds_load_b128 v[32:35], v23 offset:16
	s_waitcnt lgkmcnt(1)
	v_fma_f64 v[24:25], v[24:25], v[28:29], 0
	s_delay_alu instid0(VALU_DEP_1) | instskip(SKIP_3) | instid1(VALU_DEP_1)
	v_fma_f64 v[28:29], v[26:27], v[30:31], v[24:25]
	ds_load_2addr_b64 v[24:27], v22 offset0:18 offset1:27
	s_waitcnt lgkmcnt(0)
	v_fma_f64 v[24:25], v[24:25], v[32:33], v[28:29]
	v_fma_f64 v[24:25], v[26:27], v[34:35], v[24:25]
	global_store_b64 v[5:6], v[24:25], off
.LBB3_22:
	s_or_b32 exec_lo, exec_lo, s0
	s_waitcnt_vscnt null, 0x0
	s_barrier
	buffer_gl0_inv
	s_and_saveexec_b32 s0, s3
	s_cbranch_execz .LBB3_24
; %bb.23:
	global_load_b64 v[24:25], v[0:1], off offset:216
	s_waitcnt vmcnt(0)
	ds_store_b64 v10, v[24:25]
.LBB3_24:
	s_or_b32 exec_lo, exec_lo, s0
	s_waitcnt lgkmcnt(0)
	s_barrier
	buffer_gl0_inv
	s_and_saveexec_b32 s0, s6
	s_cbranch_execz .LBB3_26
; %bb.25:
	ds_load_2addr_b64 v[24:27], v9 offset1:1
	ds_load_2addr_b64 v[28:31], v7 offset1:1
	ds_load_b64 v[32:33], v7 offset:16
	ds_load_b64 v[34:35], v9 offset:16
	s_waitcnt lgkmcnt(2)
	v_fma_f64 v[24:25], v[28:29], v[24:25], 0
	s_delay_alu instid0(VALU_DEP_1) | instskip(SKIP_1) | instid1(VALU_DEP_1)
	v_fma_f64 v[24:25], v[30:31], v[26:27], v[24:25]
	s_waitcnt lgkmcnt(0)
	v_fma_f64 v[24:25], v[32:33], v[34:35], v[24:25]
	ds_store_b64 v8, v[24:25]
.LBB3_26:
	s_or_b32 exec_lo, exec_lo, s0
	s_waitcnt lgkmcnt(0)
	s_barrier
	buffer_gl0_inv
	s_and_saveexec_b32 s0, s7
	s_cbranch_execz .LBB3_28
; %bb.27:
	ds_load_2addr_b64 v[24:27], v12 offset1:4
	ds_load_2addr_b64 v[28:31], v2 offset1:1
	ds_load_b64 v[32:33], v12 offset:64
	s_waitcnt lgkmcnt(1)
	v_fma_f64 v[24:25], v[24:25], v[28:29], 0
	s_delay_alu instid0(VALU_DEP_1)
	v_fma_f64 v[24:25], v[26:27], v[30:31], v[24:25]
	ds_load_b64 v[26:27], v2 offset:16
	s_waitcnt lgkmcnt(0)
	v_fma_f64 v[24:25], v[32:33], v[26:27], v[24:25]
	ds_store_b64 v11, v[24:25]
.LBB3_28:
	s_or_b32 exec_lo, exec_lo, s0
	s_waitcnt lgkmcnt(0)
	s_barrier
	buffer_gl0_inv
	s_and_saveexec_b32 s0, vcc_lo
	s_cbranch_execz .LBB3_30
; %bb.29:
	global_load_b64 v[32:33], v[3:4], off
	ds_load_2addr_b64 v[24:27], v14 offset1:16
	ds_load_2addr_b64 v[28:31], v13 offset1:1
	ds_load_b64 v[34:35], v14 offset:256
	s_waitcnt lgkmcnt(1)
	v_fma_f64 v[24:25], v[24:25], v[28:29], 0
	s_delay_alu instid0(VALU_DEP_1) | instskip(SKIP_4) | instid1(VALU_DEP_1)
	v_fma_f64 v[24:25], v[26:27], v[30:31], v[24:25]
	ds_load_b64 v[26:27], v13 offset:16
	s_waitcnt lgkmcnt(0)
	v_fma_f64 v[24:25], v[34:35], v[26:27], v[24:25]
	s_waitcnt vmcnt(0)
	v_mul_f64 v[24:25], v[32:33], v[24:25]
	ds_store_b64 v16, v[24:25]
.LBB3_30:
	s_or_b32 exec_lo, exec_lo, s0
	s_waitcnt lgkmcnt(0)
	s_barrier
	buffer_gl0_inv
	s_and_saveexec_b32 s0, s8
	s_cbranch_execz .LBB3_32
; %bb.31:
	ds_load_b128 v[24:27], v19
	ds_load_b128 v[28:31], v18
	ds_load_b128 v[32:35], v18 offset:16
	ds_load_b128 v[36:39], v19 offset:16
	s_waitcnt lgkmcnt(2)
	v_fma_f64 v[24:25], v[28:29], v[24:25], 0
	s_delay_alu instid0(VALU_DEP_1) | instskip(SKIP_1) | instid1(VALU_DEP_1)
	v_fma_f64 v[24:25], v[30:31], v[26:27], v[24:25]
	s_waitcnt lgkmcnt(0)
	v_fma_f64 v[24:25], v[32:33], v[36:37], v[24:25]
	s_delay_alu instid0(VALU_DEP_1)
	v_fma_f64 v[24:25], v[34:35], v[38:39], v[24:25]
	ds_store_b64 v15, v[24:25]
.LBB3_32:
	s_or_b32 exec_lo, exec_lo, s0
	s_waitcnt lgkmcnt(0)
	s_barrier
	buffer_gl0_inv
	s_and_saveexec_b32 s0, s1
	s_cbranch_execz .LBB3_34
; %bb.33:
	ds_load_2addr_b64 v[24:27], v20 offset1:3
	ds_load_b128 v[28:31], v21
	ds_load_b128 v[32:35], v21 offset:16
	s_waitcnt lgkmcnt(1)
	v_fma_f64 v[24:25], v[24:25], v[28:29], 0
	s_delay_alu instid0(VALU_DEP_1) | instskip(SKIP_3) | instid1(VALU_DEP_1)
	v_fma_f64 v[28:29], v[26:27], v[30:31], v[24:25]
	ds_load_2addr_b64 v[24:27], v20 offset0:6 offset1:9
	s_waitcnt lgkmcnt(0)
	v_fma_f64 v[24:25], v[24:25], v[32:33], v[28:29]
	v_fma_f64 v[24:25], v[26:27], v[34:35], v[24:25]
	ds_store_b64 v17, v[24:25]
.LBB3_34:
	s_or_b32 exec_lo, exec_lo, s0
	s_waitcnt lgkmcnt(0)
	s_barrier
	buffer_gl0_inv
	s_and_saveexec_b32 s0, s3
	s_cbranch_execz .LBB3_36
; %bb.35:
	ds_load_2addr_b64 v[24:27], v22 offset1:9
	ds_load_b128 v[28:31], v23
	ds_load_b128 v[32:35], v23 offset:16
	s_waitcnt lgkmcnt(1)
	v_fma_f64 v[24:25], v[24:25], v[28:29], 0
	s_delay_alu instid0(VALU_DEP_1) | instskip(SKIP_3) | instid1(VALU_DEP_1)
	v_fma_f64 v[28:29], v[26:27], v[30:31], v[24:25]
	ds_load_2addr_b64 v[24:27], v22 offset0:18 offset1:27
	s_waitcnt lgkmcnt(0)
	v_fma_f64 v[24:25], v[24:25], v[32:33], v[28:29]
	v_fma_f64 v[24:25], v[26:27], v[34:35], v[24:25]
	global_store_b64 v[5:6], v[24:25], off offset:216
.LBB3_36:
	s_or_b32 exec_lo, exec_lo, s0
	s_waitcnt_vscnt null, 0x0
	s_barrier
	buffer_gl0_inv
	s_and_saveexec_b32 s0, s3
	s_cbranch_execz .LBB3_38
; %bb.37:
	global_load_b64 v[0:1], v[0:1], off offset:432
	s_waitcnt vmcnt(0)
	ds_store_b64 v10, v[0:1]
.LBB3_38:
	s_or_b32 exec_lo, exec_lo, s0
	s_waitcnt lgkmcnt(0)
	s_barrier
	buffer_gl0_inv
	s_and_saveexec_b32 s0, s6
	s_cbranch_execz .LBB3_40
; %bb.39:
	ds_load_2addr_b64 v[24:27], v9 offset1:1
	ds_load_2addr_b64 v[28:31], v7 offset1:1
	ds_load_b64 v[0:1], v7 offset:16
	ds_load_b64 v[9:10], v9 offset:16
	s_waitcnt lgkmcnt(2)
	v_fma_f64 v[24:25], v[28:29], v[24:25], 0
	s_delay_alu instid0(VALU_DEP_1) | instskip(SKIP_1) | instid1(VALU_DEP_1)
	v_fma_f64 v[24:25], v[30:31], v[26:27], v[24:25]
	s_waitcnt lgkmcnt(0)
	v_fma_f64 v[0:1], v[0:1], v[9:10], v[24:25]
	ds_store_b64 v8, v[0:1]
.LBB3_40:
	s_or_b32 exec_lo, exec_lo, s0
	s_waitcnt lgkmcnt(0)
	s_barrier
	buffer_gl0_inv
	s_and_saveexec_b32 s0, s7
	s_cbranch_execz .LBB3_42
; %bb.41:
	ds_load_2addr_b64 v[7:10], v12 offset1:4
	ds_load_2addr_b64 v[24:27], v2 offset1:1
	ds_load_b64 v[0:1], v12 offset:64
	s_waitcnt lgkmcnt(1)
	v_fma_f64 v[7:8], v[7:8], v[24:25], 0
	s_delay_alu instid0(VALU_DEP_1)
	v_fma_f64 v[7:8], v[9:10], v[26:27], v[7:8]
	ds_load_b64 v[9:10], v2 offset:16
	s_waitcnt lgkmcnt(0)
	v_fma_f64 v[0:1], v[0:1], v[9:10], v[7:8]
	ds_store_b64 v11, v[0:1]
.LBB3_42:
	s_or_b32 exec_lo, exec_lo, s0
	s_waitcnt lgkmcnt(0)
	s_barrier
	buffer_gl0_inv
	s_and_saveexec_b32 s0, vcc_lo
	s_cbranch_execz .LBB3_44
; %bb.43:
	global_load_b64 v[11:12], v[3:4], off
	ds_load_2addr_b64 v[0:3], v14 offset1:16
	ds_load_2addr_b64 v[7:10], v13 offset1:1
	ds_load_b64 v[24:25], v14 offset:256
	s_waitcnt lgkmcnt(1)
	v_fma_f64 v[0:1], v[0:1], v[7:8], 0
	s_delay_alu instid0(VALU_DEP_1) | instskip(SKIP_4) | instid1(VALU_DEP_1)
	v_fma_f64 v[0:1], v[2:3], v[9:10], v[0:1]
	ds_load_b64 v[2:3], v13 offset:16
	s_waitcnt lgkmcnt(0)
	v_fma_f64 v[0:1], v[24:25], v[2:3], v[0:1]
	s_waitcnt vmcnt(0)
	v_mul_f64 v[0:1], v[11:12], v[0:1]
	ds_store_b64 v16, v[0:1]
.LBB3_44:
	s_or_b32 exec_lo, exec_lo, s0
	s_waitcnt lgkmcnt(0)
	s_barrier
	buffer_gl0_inv
	s_and_saveexec_b32 s0, s8
	s_cbranch_execz .LBB3_46
; %bb.45:
	ds_load_b128 v[0:3], v19
	ds_load_b128 v[7:10], v18
	ds_load_b128 v[11:14], v18 offset:16
	ds_load_b128 v[24:27], v19 offset:16
	s_waitcnt lgkmcnt(2)
	v_fma_f64 v[0:1], v[7:8], v[0:1], 0
	s_delay_alu instid0(VALU_DEP_1) | instskip(SKIP_1) | instid1(VALU_DEP_1)
	v_fma_f64 v[0:1], v[9:10], v[2:3], v[0:1]
	s_waitcnt lgkmcnt(0)
	v_fma_f64 v[0:1], v[11:12], v[24:25], v[0:1]
	s_delay_alu instid0(VALU_DEP_1)
	v_fma_f64 v[0:1], v[13:14], v[26:27], v[0:1]
	ds_store_b64 v15, v[0:1]
.LBB3_46:
	s_or_b32 exec_lo, exec_lo, s0
	s_waitcnt lgkmcnt(0)
	s_barrier
	buffer_gl0_inv
	s_and_saveexec_b32 s0, s1
	s_cbranch_execz .LBB3_48
; %bb.47:
	ds_load_2addr_b64 v[0:3], v20 offset1:3
	ds_load_b128 v[7:10], v21
	ds_load_b128 v[11:14], v21 offset:16
	s_waitcnt lgkmcnt(1)
	v_fma_f64 v[0:1], v[0:1], v[7:8], 0
	s_delay_alu instid0(VALU_DEP_1) | instskip(SKIP_3) | instid1(VALU_DEP_1)
	v_fma_f64 v[7:8], v[2:3], v[9:10], v[0:1]
	ds_load_2addr_b64 v[0:3], v20 offset0:6 offset1:9
	s_waitcnt lgkmcnt(0)
	v_fma_f64 v[0:1], v[0:1], v[11:12], v[7:8]
	v_fma_f64 v[0:1], v[2:3], v[13:14], v[0:1]
	ds_store_b64 v17, v[0:1]
.LBB3_48:
	s_or_b32 exec_lo, exec_lo, s0
	s_waitcnt lgkmcnt(0)
	s_barrier
	buffer_gl0_inv
	s_and_saveexec_b32 s0, s3
	s_cbranch_execz .LBB3_50
; %bb.49:
	ds_load_2addr_b64 v[0:3], v22 offset1:9
	ds_load_b128 v[7:10], v23
	ds_load_b128 v[11:14], v23 offset:16
	s_waitcnt lgkmcnt(1)
	v_fma_f64 v[0:1], v[0:1], v[7:8], 0
	s_delay_alu instid0(VALU_DEP_1) | instskip(SKIP_3) | instid1(VALU_DEP_1)
	v_fma_f64 v[7:8], v[2:3], v[9:10], v[0:1]
	ds_load_2addr_b64 v[0:3], v22 offset0:18 offset1:27
	s_waitcnt lgkmcnt(0)
	v_fma_f64 v[0:1], v[0:1], v[11:12], v[7:8]
	v_fma_f64 v[0:1], v[2:3], v[13:14], v[0:1]
	global_store_b64 v[5:6], v[0:1], off offset:432
.LBB3_50:
	s_or_b32 exec_lo, exec_lo, s0
	s_waitcnt_vscnt null, 0x0
	s_barrier
	buffer_gl0_inv
.LBB3_51:
	s_endpgm
	.section	.rodata,"a",@progbits
	.p2align	6, 0x0
	.amdhsa_kernel _ZN4RAJA34launch_new_reduce_global_fcn_fixedIZN8rajaperf4apps11MASSVEC3DPA17runHipVariantImplILm64ELm1EEEvNS1_9VariantIDEEUlNS_14LaunchContextTINS_3hip33LaunchContextIndicesAndDimsPolicyINS7_14IndicesAndDimsILb0ELb0ELb0ELb0EEEEEEEE_Li64ENS_4expt15ForallParamPackIJEEEEEvT_T1_
		.amdhsa_group_segment_fixed_size 1216
		.amdhsa_private_segment_fixed_size 0
		.amdhsa_kernarg_size 44
		.amdhsa_user_sgpr_count 15
		.amdhsa_user_sgpr_dispatch_ptr 0
		.amdhsa_user_sgpr_queue_ptr 0
		.amdhsa_user_sgpr_kernarg_segment_ptr 1
		.amdhsa_user_sgpr_dispatch_id 0
		.amdhsa_user_sgpr_private_segment_size 0
		.amdhsa_wavefront_size32 1
		.amdhsa_uses_dynamic_stack 0
		.amdhsa_enable_private_segment 0
		.amdhsa_system_sgpr_workgroup_id_x 1
		.amdhsa_system_sgpr_workgroup_id_y 0
		.amdhsa_system_sgpr_workgroup_id_z 0
		.amdhsa_system_sgpr_workgroup_info 0
		.amdhsa_system_vgpr_workitem_id 2
		.amdhsa_next_free_vgpr 44
		.amdhsa_next_free_sgpr 16
		.amdhsa_reserve_vcc 1
		.amdhsa_float_round_mode_32 0
		.amdhsa_float_round_mode_16_64 0
		.amdhsa_float_denorm_mode_32 3
		.amdhsa_float_denorm_mode_16_64 3
		.amdhsa_dx10_clamp 1
		.amdhsa_ieee_mode 1
		.amdhsa_fp16_overflow 0
		.amdhsa_workgroup_processor_mode 1
		.amdhsa_memory_ordered 1
		.amdhsa_forward_progress 0
		.amdhsa_shared_vgpr_count 0
		.amdhsa_exception_fp_ieee_invalid_op 0
		.amdhsa_exception_fp_denorm_src 0
		.amdhsa_exception_fp_ieee_div_zero 0
		.amdhsa_exception_fp_ieee_overflow 0
		.amdhsa_exception_fp_ieee_underflow 0
		.amdhsa_exception_fp_ieee_inexact 0
		.amdhsa_exception_int_div_zero 0
	.end_amdhsa_kernel
	.section	.text._ZN4RAJA34launch_new_reduce_global_fcn_fixedIZN8rajaperf4apps11MASSVEC3DPA17runHipVariantImplILm64ELm1EEEvNS1_9VariantIDEEUlNS_14LaunchContextTINS_3hip33LaunchContextIndicesAndDimsPolicyINS7_14IndicesAndDimsILb0ELb0ELb0ELb0EEEEEEEE_Li64ENS_4expt15ForallParamPackIJEEEEEvT_T1_,"axG",@progbits,_ZN4RAJA34launch_new_reduce_global_fcn_fixedIZN8rajaperf4apps11MASSVEC3DPA17runHipVariantImplILm64ELm1EEEvNS1_9VariantIDEEUlNS_14LaunchContextTINS_3hip33LaunchContextIndicesAndDimsPolicyINS7_14IndicesAndDimsILb0ELb0ELb0ELb0EEEEEEEE_Li64ENS_4expt15ForallParamPackIJEEEEEvT_T1_,comdat
.Lfunc_end3:
	.size	_ZN4RAJA34launch_new_reduce_global_fcn_fixedIZN8rajaperf4apps11MASSVEC3DPA17runHipVariantImplILm64ELm1EEEvNS1_9VariantIDEEUlNS_14LaunchContextTINS_3hip33LaunchContextIndicesAndDimsPolicyINS7_14IndicesAndDimsILb0ELb0ELb0ELb0EEEEEEEE_Li64ENS_4expt15ForallParamPackIJEEEEEvT_T1_, .Lfunc_end3-_ZN4RAJA34launch_new_reduce_global_fcn_fixedIZN8rajaperf4apps11MASSVEC3DPA17runHipVariantImplILm64ELm1EEEvNS1_9VariantIDEEUlNS_14LaunchContextTINS_3hip33LaunchContextIndicesAndDimsPolicyINS7_14IndicesAndDimsILb0ELb0ELb0ELb0EEEEEEEE_Li64ENS_4expt15ForallParamPackIJEEEEEvT_T1_
                                        ; -- End function
	.section	.AMDGPU.csdata,"",@progbits
; Kernel info:
; codeLenInByte = 3044
; NumSgprs: 18
; NumVgprs: 44
; ScratchSize: 0
; MemoryBound: 1
; FloatMode: 240
; IeeeMode: 1
; LDSByteSize: 1216 bytes/workgroup (compile time only)
; SGPRBlocks: 2
; VGPRBlocks: 5
; NumSGPRsForWavesPerEU: 18
; NumVGPRsForWavesPerEU: 44
; Occupancy: 16
; WaveLimiterHint : 0
; COMPUTE_PGM_RSRC2:SCRATCH_EN: 0
; COMPUTE_PGM_RSRC2:USER_SGPR: 15
; COMPUTE_PGM_RSRC2:TRAP_HANDLER: 0
; COMPUTE_PGM_RSRC2:TGID_X_EN: 1
; COMPUTE_PGM_RSRC2:TGID_Y_EN: 0
; COMPUTE_PGM_RSRC2:TGID_Z_EN: 0
; COMPUTE_PGM_RSRC2:TIDIG_COMP_CNT: 2
	.section	.text._ZN4RAJA34launch_new_reduce_global_fcn_fixedIZN8rajaperf4apps11MASSVEC3DPA17runHipVariantImplILm64ELm2EEEvNS1_9VariantIDEEUlNS_14LaunchContextTINS_3hip33LaunchContextIndicesAndDimsPolicyINS7_14IndicesAndDimsILb0ELb0ELb1ELb0EEEEEEEE_Li64ENS_4expt15ForallParamPackIJEEEEEvT_T1_,"axG",@progbits,_ZN4RAJA34launch_new_reduce_global_fcn_fixedIZN8rajaperf4apps11MASSVEC3DPA17runHipVariantImplILm64ELm2EEEvNS1_9VariantIDEEUlNS_14LaunchContextTINS_3hip33LaunchContextIndicesAndDimsPolicyINS7_14IndicesAndDimsILb0ELb0ELb1ELb0EEEEEEEE_Li64ENS_4expt15ForallParamPackIJEEEEEvT_T1_,comdat
	.protected	_ZN4RAJA34launch_new_reduce_global_fcn_fixedIZN8rajaperf4apps11MASSVEC3DPA17runHipVariantImplILm64ELm2EEEvNS1_9VariantIDEEUlNS_14LaunchContextTINS_3hip33LaunchContextIndicesAndDimsPolicyINS7_14IndicesAndDimsILb0ELb0ELb1ELb0EEEEEEEE_Li64ENS_4expt15ForallParamPackIJEEEEEvT_T1_ ; -- Begin function _ZN4RAJA34launch_new_reduce_global_fcn_fixedIZN8rajaperf4apps11MASSVEC3DPA17runHipVariantImplILm64ELm2EEEvNS1_9VariantIDEEUlNS_14LaunchContextTINS_3hip33LaunchContextIndicesAndDimsPolicyINS7_14IndicesAndDimsILb0ELb0ELb1ELb0EEEEEEEE_Li64ENS_4expt15ForallParamPackIJEEEEEvT_T1_
	.globl	_ZN4RAJA34launch_new_reduce_global_fcn_fixedIZN8rajaperf4apps11MASSVEC3DPA17runHipVariantImplILm64ELm2EEEvNS1_9VariantIDEEUlNS_14LaunchContextTINS_3hip33LaunchContextIndicesAndDimsPolicyINS7_14IndicesAndDimsILb0ELb0ELb1ELb0EEEEEEEE_Li64ENS_4expt15ForallParamPackIJEEEEEvT_T1_
	.p2align	8
	.type	_ZN4RAJA34launch_new_reduce_global_fcn_fixedIZN8rajaperf4apps11MASSVEC3DPA17runHipVariantImplILm64ELm2EEEvNS1_9VariantIDEEUlNS_14LaunchContextTINS_3hip33LaunchContextIndicesAndDimsPolicyINS7_14IndicesAndDimsILb0ELb0ELb1ELb0EEEEEEEE_Li64ENS_4expt15ForallParamPackIJEEEEEvT_T1_,@function
_ZN4RAJA34launch_new_reduce_global_fcn_fixedIZN8rajaperf4apps11MASSVEC3DPA17runHipVariantImplILm64ELm2EEEvNS1_9VariantIDEEUlNS_14LaunchContextTINS_3hip33LaunchContextIndicesAndDimsPolicyINS7_14IndicesAndDimsILb0ELb0ELb1ELb0EEEEEEEE_Li64ENS_4expt15ForallParamPackIJEEEEEvT_T1_: ; @_ZN4RAJA34launch_new_reduce_global_fcn_fixedIZN8rajaperf4apps11MASSVEC3DPA17runHipVariantImplILm64ELm2EEEvNS1_9VariantIDEEUlNS_14LaunchContextTINS_3hip33LaunchContextIndicesAndDimsPolicyINS7_14IndicesAndDimsILb0ELb0ELb1ELb0EEEEEEEE_Li64ENS_4expt15ForallParamPackIJEEEEEvT_T1_
; %bb.0:
	s_load_b256 s[4:11], s[0:1], 0x0
	s_mov_b32 s14, s15
	s_mov_b32 s15, 0
	s_waitcnt lgkmcnt(0)
	v_cmp_le_i64_e64 s2, s[4:5], s[14:15]
	s_delay_alu instid0(VALU_DEP_1)
	s_and_b32 vcc_lo, exec_lo, s2
	s_cbranch_vccnz .LBB4_78
; %bb.1:
	s_clause 0x1
	s_load_b64 s[2:3], s[0:1], 0x3c
	s_load_b64 s[12:13], s[0:1], 0x20
	v_bfe_u32 v8, v0, 20, 10
	v_bfe_u32 v10, v0, 10, 10
	v_and_b32_e32 v12, 0x3ff, v0
	s_mov_b32 s5, exec_lo
                                        ; implicit-def: $vgpr1_vgpr2
                                        ; implicit-def: $sgpr0_sgpr1
                                        ; implicit-def: $vgpr3_vgpr4
	s_waitcnt lgkmcnt(0)
	s_and_b32 s20, s3, 0xffff
	s_lshr_b32 s4, s2, 16
	s_and_b32 s16, s2, 0xffff
                                        ; implicit-def: $sgpr2_sgpr3
	v_cmpx_ne_u32_e32 0, v8
	s_xor_b32 s18, exec_lo, s5
; %bb.2:
	v_dual_mov_b32 v11, 0 :: v_dual_and_b32 v12, 0x3ff, v0
	v_bfe_u32 v10, v0, 10, 10
	s_mov_b32 s5, 0
	s_lshl_b32 s0, s16, 3
	s_delay_alu instid0(VALU_DEP_2)
	v_mov_b32_e32 v13, v11
	v_dual_mov_b32 v2, v11 :: v_dual_lshlrev_b32 v1, 3, v12
	v_dual_mov_b32 v4, v11 :: v_dual_lshlrev_b32 v3, 5, v10
	s_mov_b32 s17, s5
	s_mov_b32 s1, s5
	s_lshl_b32 s2, s4, 5
	s_mov_b32 s3, s5
; %bb.3:
	s_or_saveexec_b32 s21, s18
	v_dual_mov_b32 v0, s20 :: v_dual_mov_b32 v21, s3
	v_dual_mov_b32 v15, s5 :: v_dual_mov_b32 v14, s4
	;; [unrolled: 1-line block ×4, first 2 shown]
	v_mov_b32_e32 v20, s2
	s_xor_b32 exec_lo, exec_lo, s21
	s_cbranch_execz .LBB4_13
; %bb.4:
	v_mov_b32_e32 v11, 0
	v_lshlrev_b32_e32 v3, 5, v10
	v_lshlrev_b32_e32 v1, 3, v12
	v_mul_u32_u24_e32 v7, 24, v12
	s_delay_alu instid0(VALU_DEP_4) | instskip(SKIP_1) | instid1(VALU_DEP_4)
	v_dual_mov_b32 v2, v11 :: v_dual_lshlrev_b32 v9, 3, v10
	v_mov_b32_e32 v4, v11
	v_add_co_u32 v0, s2, v3, v1
	s_delay_alu instid0(VALU_DEP_1) | instskip(SKIP_1) | instid1(VALU_DEP_3)
	v_add_co_ci_u32_e64 v6, null, 0, 0, s2
	v_cmp_gt_u32_e64 s0, 3, v10
	v_add_co_u32 v5, vcc_lo, s6, v0
	v_cmp_gt_u32_e64 s1, 4, v12
	v_mov_b32_e32 v13, v11
	v_add_co_ci_u32_e32 v6, vcc_lo, s7, v6, vcc_lo
	v_add3_u32 v0, v3, v1, 0x460
	v_add3_u32 v7, v7, v9, 0x400
	s_mov_b32 s5, 0
	s_cmp_lg_u32 s20, 0
	s_mov_b32 s17, s5
	s_cselect_b32 s3, -1, 0
	s_lshl_b32 s6, s4, 5
	s_mov_b32 s7, s5
	s_lshl_b32 s18, s16, 3
	s_mov_b32 s19, s5
	s_lshl_b32 s22, s4, 3
	s_mul_i32 s23, s16, 24
	s_branch .LBB4_6
.LBB4_5:                                ;   in Loop: Header=BB4_6 Depth=1
	s_set_inst_prefetch_distance 0x2
	s_or_b32 exec_lo, exec_lo, s24
	s_delay_alu instid0(SALU_CYCLE_1)
	s_and_not1_b32 vcc_lo, exec_lo, s3
	s_cbranch_vccz .LBB4_12
.LBB4_6:                                ; =>This Loop Header: Depth=1
                                        ;     Child Loop BB4_9 Depth 2
                                        ;       Child Loop BB4_11 Depth 3
	s_and_saveexec_b32 s24, s0
	s_cbranch_execz .LBB4_5
; %bb.7:                                ;   in Loop: Header=BB4_6 Depth=1
	v_dual_mov_b32 v9, v7 :: v_dual_mov_b32 v22, v0
	v_dual_mov_b32 v15, v6 :: v_dual_mov_b32 v14, v5
	;; [unrolled: 1-line block ×3, first 2 shown]
	s_mov_b32 s25, 0
	s_set_inst_prefetch_distance 0x1
	s_branch .LBB4_9
	.p2align	6
.LBB4_8:                                ;   in Loop: Header=BB4_9 Depth=2
	s_or_b32 exec_lo, exec_lo, s2
	v_add_co_u32 v16, vcc_lo, v16, s4
	v_add_co_ci_u32_e32 v17, vcc_lo, 0, v17, vcc_lo
	v_add_co_u32 v14, s2, v14, s6
	s_delay_alu instid0(VALU_DEP_1) | instskip(NEXT) | instid1(VALU_DEP_3)
	v_add_co_ci_u32_e64 v15, s2, 0, v15, s2
	v_cmp_lt_u64_e32 vcc_lo, 2, v[16:17]
	v_add_nc_u32_e32 v22, s6, v22
	v_add_nc_u32_e32 v9, s22, v9
	s_or_b32 s25, vcc_lo, s25
	s_delay_alu instid0(SALU_CYCLE_1)
	s_and_not1_b32 exec_lo, exec_lo, s25
	s_cbranch_execz .LBB4_5
.LBB4_9:                                ;   Parent Loop BB4_6 Depth=1
                                        ; =>  This Loop Header: Depth=2
                                        ;       Child Loop BB4_11 Depth 3
	s_and_saveexec_b32 s2, s1
	s_cbranch_execz .LBB4_8
; %bb.10:                               ;   in Loop: Header=BB4_9 Depth=2
	v_dual_mov_b32 v23, v9 :: v_dual_mov_b32 v24, v22
	v_dual_mov_b32 v19, v15 :: v_dual_mov_b32 v18, v14
	v_dual_mov_b32 v21, v13 :: v_dual_mov_b32 v20, v12
	s_mov_b32 s26, 0
	.p2align	6
.LBB4_11:                               ;   Parent Loop BB4_6 Depth=1
                                        ;     Parent Loop BB4_9 Depth=2
                                        ; =>    This Inner Loop Header: Depth=3
	global_load_b64 v[25:26], v[18:19], off
	v_add_co_u32 v20, vcc_lo, v20, s16
	v_add_co_ci_u32_e32 v21, vcc_lo, 0, v21, vcc_lo
	v_add_co_u32 v18, vcc_lo, v18, s18
	v_add_co_ci_u32_e32 v19, vcc_lo, 0, v19, vcc_lo
	s_delay_alu instid0(VALU_DEP_3)
	v_cmp_lt_u64_e32 vcc_lo, 3, v[20:21]
	s_waitcnt vmcnt(0)
	ds_store_b64 v23, v[25:26]
	ds_store_b64 v24, v[25:26]
	v_add_nc_u32_e32 v24, s18, v24
	v_add_nc_u32_e32 v23, s23, v23
	s_or_b32 s26, vcc_lo, s26
	s_delay_alu instid0(SALU_CYCLE_1)
	s_and_not1_b32 exec_lo, exec_lo, s26
	s_cbranch_execnz .LBB4_11
	s_branch .LBB4_8
.LBB4_12:
	v_dual_mov_b32 v0, s20 :: v_dual_mov_b32 v21, s7
	v_dual_mov_b32 v15, s5 :: v_dual_mov_b32 v14, s4
	;; [unrolled: 1-line block ×4, first 2 shown]
	v_mov_b32_e32 v20, s6
.LBB4_13:
	s_or_b32 exec_lo, exec_lo, s21
	v_mul_hi_u32_u24_e32 v6, 0x48, v8
	v_mul_u32_u24_e32 v5, 0x48, v8
	v_mul_lo_u32 v7, v10, 24
	v_lshlrev_b32_e32 v29, 7, v8
	v_dual_mov_b32 v9, 0 :: v_dual_lshlrev_b32 v28, 5, v10
	s_delay_alu instid0(VALU_DEP_4)
	v_mad_u64_u32 v[22:23], null, 0x288, s14, v[5:6]
	s_lshl_b64 s[6:7], s[14:15], 9
	v_mul_lo_u32 v42, 0x48, v0
	v_mul_lo_u32 v44, 0x60, v0
	v_lshlrev_b32_e32 v53, 7, v0
	v_mul_lo_u32 v50, v16, 24
	v_cmp_gt_u32_e32 vcc_lo, 3, v8
	v_mad_u64_u32 v[5:6], null, v10, 24, v[22:23]
	v_mad_u64_u32 v[22:23], null, v14, 24, 0
	v_lshlrev_b32_e32 v27, 3, v12
	v_cmp_gt_u32_e64 s0, 4, v8
	v_cmp_gt_u32_e64 s1, 3, v10
	;; [unrolled: 1-line block ×3, first 2 shown]
	v_mad_u64_u32 v[24:25], null, v11, 24, v[6:7]
	v_dual_mov_b32 v6, v23 :: v_dual_lshlrev_b32 v43, 3, v16
	v_add_co_u32 v5, s5, v5, v1
	v_mad_u32_u24 v46, 0x60, v8, v27
	s_delay_alu instid0(VALU_DEP_3)
	v_mad_u64_u32 v[25:26], null, v15, 24, v[6:7]
	v_mov_b32_e32 v6, v24
	v_add_nc_u32_e32 v30, v7, v27
	v_add_nc_u32_e32 v51, v28, v27
	v_add3_u32 v47, v46, v28, 0x200
	v_cmp_gt_u32_e64 s3, 4, v12
	v_add_co_ci_u32_e64 v6, s5, v6, v2, s5
	v_mov_b32_e32 v49, v25
	v_add_co_u32 v23, s5, s8, v5
	s_delay_alu instid0(VALU_DEP_1) | instskip(SKIP_2) | instid1(VALU_DEP_1)
	v_add_co_ci_u32_e64 v24, s5, s9, v6, s5
	v_mad_u64_u32 v[25:26], null, v12, 24, 0x400
	v_add_co_u32 v26, s5, s6, v29
	v_add_co_ci_u32_e64 v27, null, s7, 0, s5
	v_mad_u32_u24 v48, 0x48, v8, v30
	s_delay_alu instid0(VALU_DEP_3) | instskip(NEXT) | instid1(VALU_DEP_1)
	v_add_co_u32 v3, s5, v26, v3
	v_add_co_ci_u32_e64 v4, s5, v27, v4, s5
	v_add_nc_u32_e32 v52, v51, v29
	s_delay_alu instid0(VALU_DEP_3) | instskip(NEXT) | instid1(VALU_DEP_1)
	v_add_co_u32 v0, s5, v3, v1
	v_add_co_ci_u32_e64 v1, s5, v4, v2, s5
	v_cmp_gt_u32_e64 s4, 4, v10
	s_delay_alu instid0(VALU_DEP_3) | instskip(NEXT) | instid1(VALU_DEP_1)
	v_add_co_u32 v26, s5, s10, v0
	v_add_co_ci_u32_e64 v27, s5, s11, v1, s5
	v_add_co_u32 v28, s5, s12, v5
	v_lshlrev_b32_e32 v45, 5, v14
	v_add_nc_u32_e32 v54, 0x200, v46
	v_add_nc_u32_e32 v55, 0x200, v52
	;; [unrolled: 1-line block ×3, first 2 shown]
	v_lshl_add_u32 v57, v12, 5, 0x460
	v_lshlrev_b32_e32 v58, 5, v16
	v_add_nc_u32_e32 v59, 0x200, v48
	v_add_co_ci_u32_e64 v29, s5, s13, v6, s5
	v_add_nc_u32_e32 v60, 0x200, v30
	s_mul_i32 s7, s20, 0x48
	s_lshl_b32 s10, s20, 7
	s_mov_b64 s[8:9], 0
	s_branch .LBB4_15
.LBB4_14:                               ;   in Loop: Header=BB4_15 Depth=1
	s_or_b32 exec_lo, exec_lo, s11
	v_add_co_u32 v23, s5, 0xd8, v23
	s_delay_alu instid0(VALU_DEP_1)
	v_add_co_ci_u32_e64 v24, s5, 0, v24, s5
	v_add_co_u32 v28, s5, 0xd8, v28
	s_add_u32 s8, s8, 1
	v_add_co_ci_u32_e64 v29, s5, 0, v29, s5
	s_addc_u32 s9, s9, 0
	s_waitcnt_vscnt null, 0x0
	s_cmp_lg_u64 s[8:9], 3
	s_barrier
	buffer_gl0_inv
	s_cbranch_scc0 .LBB4_78
.LBB4_15:                               ; =>This Loop Header: Depth=1
                                        ;     Child Loop BB4_18 Depth 2
                                        ;       Child Loop BB4_21 Depth 3
                                        ;         Child Loop BB4_23 Depth 4
                                        ;     Child Loop BB4_27 Depth 2
                                        ;       Child Loop BB4_30 Depth 3
                                        ;         Child Loop BB4_32 Depth 4
	;; [unrolled: 3-line block ×7, first 2 shown]
	s_and_saveexec_b32 s11, vcc_lo
	s_cbranch_execz .LBB4_24
; %bb.16:                               ;   in Loop: Header=BB4_15 Depth=1
	v_mov_b32_e32 v2, v8
	v_dual_mov_b32 v34, v48 :: v_dual_mov_b32 v3, v9
	v_dual_mov_b32 v0, v23 :: v_dual_mov_b32 v1, v24
	s_mov_b32 s12, 0
	s_branch .LBB4_18
.LBB4_17:                               ;   in Loop: Header=BB4_18 Depth=2
	s_set_inst_prefetch_distance 0x2
	s_or_b32 exec_lo, exec_lo, s13
	v_add_co_u32 v2, s5, v2, s20
	s_delay_alu instid0(VALU_DEP_1) | instskip(SKIP_1) | instid1(VALU_DEP_1)
	v_add_co_ci_u32_e64 v3, s5, 0, v3, s5
	v_add_co_u32 v0, s6, v0, s7
	v_add_co_ci_u32_e64 v1, s6, 0, v1, s6
	s_delay_alu instid0(VALU_DEP_3) | instskip(SKIP_1) | instid1(VALU_DEP_2)
	v_cmp_lt_u64_e64 s5, 2, v[2:3]
	v_add_nc_u32_e32 v34, v34, v42
	s_or_b32 s12, s5, s12
	s_delay_alu instid0(SALU_CYCLE_1)
	s_and_not1_b32 exec_lo, exec_lo, s12
	s_cbranch_execz .LBB4_24
.LBB4_18:                               ;   Parent Loop BB4_15 Depth=1
                                        ; =>  This Loop Header: Depth=2
                                        ;       Child Loop BB4_21 Depth 3
                                        ;         Child Loop BB4_23 Depth 4
	s_and_saveexec_b32 s13, s1
	s_cbranch_execz .LBB4_17
; %bb.19:                               ;   in Loop: Header=BB4_18 Depth=2
	v_dual_mov_b32 v5, v1 :: v_dual_mov_b32 v6, v10
	v_dual_mov_b32 v35, v34 :: v_dual_mov_b32 v4, v0
	v_mov_b32_e32 v7, v11
	s_mov_b32 s14, 0
	s_set_inst_prefetch_distance 0x1
	s_branch .LBB4_21
	.p2align	6
.LBB4_20:                               ;   in Loop: Header=BB4_21 Depth=3
	s_or_b32 exec_lo, exec_lo, s15
	v_add_co_u32 v6, s5, v6, v14
	s_delay_alu instid0(VALU_DEP_1) | instskip(SKIP_1) | instid1(VALU_DEP_1)
	v_add_co_ci_u32_e64 v7, s5, v7, v15, s5
	v_add_co_u32 v4, s6, v4, v22
	v_add_co_ci_u32_e64 v5, s6, v5, v49, s6
	s_delay_alu instid0(VALU_DEP_3) | instskip(SKIP_1) | instid1(VALU_DEP_2)
	v_cmp_lt_u64_e64 s5, 2, v[6:7]
	v_add_nc_u32_e32 v35, v35, v22
	s_or_b32 s14, s5, s14
	s_delay_alu instid0(SALU_CYCLE_1)
	s_and_not1_b32 exec_lo, exec_lo, s14
	s_cbranch_execz .LBB4_17
.LBB4_21:                               ;   Parent Loop BB4_15 Depth=1
                                        ;     Parent Loop BB4_18 Depth=2
                                        ; =>    This Loop Header: Depth=3
                                        ;         Child Loop BB4_23 Depth 4
	s_and_saveexec_b32 s15, s2
	s_cbranch_execz .LBB4_20
; %bb.22:                               ;   in Loop: Header=BB4_21 Depth=3
	v_dual_mov_b32 v36, v35 :: v_dual_mov_b32 v31, v5
	v_dual_mov_b32 v30, v4 :: v_dual_mov_b32 v33, v13
	v_mov_b32_e32 v32, v12
	s_mov_b32 s16, 0
	.p2align	6
.LBB4_23:                               ;   Parent Loop BB4_15 Depth=1
                                        ;     Parent Loop BB4_18 Depth=2
                                        ;       Parent Loop BB4_21 Depth=3
                                        ; =>      This Inner Loop Header: Depth=4
	global_load_b64 v[37:38], v[30:31], off
	v_add_co_u32 v32, s5, v32, v16
	s_delay_alu instid0(VALU_DEP_1) | instskip(SKIP_1) | instid1(VALU_DEP_1)
	v_add_co_ci_u32_e64 v33, s5, v33, v17, s5
	v_add_co_u32 v30, s5, v30, v18
	v_add_co_ci_u32_e64 v31, s5, v31, v19, s5
	s_delay_alu instid0(VALU_DEP_3) | instskip(NEXT) | instid1(VALU_DEP_1)
	v_cmp_lt_u64_e64 s6, 2, v[32:33]
	s_or_b32 s16, s6, s16
	s_waitcnt vmcnt(0)
	ds_store_b64 v36, v[37:38]
	v_add_nc_u32_e32 v36, v36, v43
	s_and_not1_b32 exec_lo, exec_lo, s16
	s_cbranch_execnz .LBB4_23
	s_branch .LBB4_20
.LBB4_24:                               ;   in Loop: Header=BB4_15 Depth=1
	s_or_b32 exec_lo, exec_lo, s11
	s_waitcnt lgkmcnt(0)
	s_barrier
	buffer_gl0_inv
	s_and_saveexec_b32 s6, vcc_lo
	s_cbranch_execz .LBB4_33
; %bb.25:                               ;   in Loop: Header=BB4_15 Depth=1
	v_mov_b32_e32 v4, v8
	v_dual_mov_b32 v34, v47 :: v_dual_mov_b32 v5, v9
	s_mov_b32 s11, 0
	s_branch .LBB4_27
.LBB4_26:                               ;   in Loop: Header=BB4_27 Depth=2
	s_or_b32 exec_lo, exec_lo, s12
	v_add_co_u32 v4, s5, v4, s20
	s_delay_alu instid0(VALU_DEP_1) | instskip(SKIP_1) | instid1(VALU_DEP_2)
	v_add_co_ci_u32_e64 v5, s5, 0, v5, s5
	v_add_nc_u32_e32 v34, v34, v44
	v_cmp_lt_u64_e64 s5, 2, v[4:5]
	s_delay_alu instid0(VALU_DEP_1) | instskip(NEXT) | instid1(SALU_CYCLE_1)
	s_or_b32 s11, s5, s11
	s_and_not1_b32 exec_lo, exec_lo, s11
	s_cbranch_execz .LBB4_33
.LBB4_27:                               ;   Parent Loop BB4_15 Depth=1
                                        ; =>  This Loop Header: Depth=2
                                        ;       Child Loop BB4_30 Depth 3
                                        ;         Child Loop BB4_32 Depth 4
	s_and_saveexec_b32 s12, s1
	s_cbranch_execz .LBB4_26
; %bb.28:                               ;   in Loop: Header=BB4_27 Depth=2
	v_mov_b32_e32 v35, v34
	v_dual_mov_b32 v6, v10 :: v_dual_mov_b32 v7, v11
	s_mov_b32 s13, 0
	s_branch .LBB4_30
.LBB4_29:                               ;   in Loop: Header=BB4_30 Depth=3
	s_or_b32 exec_lo, exec_lo, s14
	v_add_co_u32 v6, s5, v6, v14
	s_delay_alu instid0(VALU_DEP_1) | instskip(SKIP_1) | instid1(VALU_DEP_2)
	v_add_co_ci_u32_e64 v7, s5, v7, v15, s5
	v_add_nc_u32_e32 v35, v35, v45
	v_cmp_lt_u64_e64 s5, 2, v[6:7]
	s_delay_alu instid0(VALU_DEP_1) | instskip(NEXT) | instid1(SALU_CYCLE_1)
	s_or_b32 s13, s5, s13
	s_and_not1_b32 exec_lo, exec_lo, s13
	s_cbranch_execz .LBB4_26
.LBB4_30:                               ;   Parent Loop BB4_15 Depth=1
                                        ;     Parent Loop BB4_27 Depth=2
                                        ; =>    This Loop Header: Depth=3
                                        ;         Child Loop BB4_32 Depth 4
	s_and_saveexec_b32 s14, s3
	s_cbranch_execz .LBB4_29
; %bb.31:                               ;   in Loop: Header=BB4_30 Depth=3
	v_mul_lo_u32 v0, v6, 24
	v_dual_mov_b32 v36, v25 :: v_dual_mov_b32 v37, v35
	v_dual_mov_b32 v33, v13 :: v_dual_mov_b32 v32, v12
	s_mov_b32 s15, 0
	s_delay_alu instid0(VALU_DEP_3)
	v_mad_u64_u32 v[30:31], null, 0x48, v4, v[0:1]
	ds_load_2addr_b64 v[0:3], v30 offset1:1
	ds_load_b64 v[30:31], v30 offset:16
	.p2align	6
.LBB4_32:                               ;   Parent Loop BB4_15 Depth=1
                                        ;     Parent Loop BB4_27 Depth=2
                                        ;       Parent Loop BB4_30 Depth=3
                                        ; =>      This Inner Loop Header: Depth=4
	ds_load_2addr_b64 v[38:41], v36 offset1:1
	ds_load_b64 v[61:62], v36 offset:16
	v_add_co_u32 v32, s5, v32, v16
	s_delay_alu instid0(VALU_DEP_1) | instskip(SKIP_1) | instid1(VALU_DEP_2)
	v_add_co_ci_u32_e64 v33, s5, v33, v17, s5
	v_add_nc_u32_e32 v36, v36, v50
	v_cmp_lt_u64_e64 s5, 3, v[32:33]
	s_delay_alu instid0(VALU_DEP_1) | instskip(SKIP_2) | instid1(VALU_DEP_1)
	s_or_b32 s15, s5, s15
	s_waitcnt lgkmcnt(1)
	v_fma_f64 v[38:39], v[0:1], v[38:39], 0
	v_fma_f64 v[38:39], v[2:3], v[40:41], v[38:39]
	s_waitcnt lgkmcnt(0)
	s_delay_alu instid0(VALU_DEP_1)
	v_fma_f64 v[38:39], v[30:31], v[61:62], v[38:39]
	ds_store_b64 v37, v[38:39]
	v_add_nc_u32_e32 v37, v37, v43
	s_and_not1_b32 exec_lo, exec_lo, s15
	s_cbranch_execnz .LBB4_32
	s_branch .LBB4_29
.LBB4_33:                               ;   in Loop: Header=BB4_15 Depth=1
	s_or_b32 exec_lo, exec_lo, s6
	s_waitcnt lgkmcnt(0)
	s_barrier
	buffer_gl0_inv
	s_and_saveexec_b32 s6, vcc_lo
	s_cbranch_execz .LBB4_42
; %bb.34:                               ;   in Loop: Header=BB4_15 Depth=1
	v_dual_mov_b32 v34, v54 :: v_dual_mov_b32 v35, v52
	v_dual_mov_b32 v4, v8 :: v_dual_mov_b32 v5, v9
	s_mov_b32 s11, 0
	s_branch .LBB4_36
.LBB4_35:                               ;   in Loop: Header=BB4_36 Depth=2
	s_set_inst_prefetch_distance 0x2
	s_or_b32 exec_lo, exec_lo, s12
	v_add_co_u32 v4, s5, v4, s20
	s_delay_alu instid0(VALU_DEP_1) | instskip(SKIP_2) | instid1(VALU_DEP_3)
	v_add_co_ci_u32_e64 v5, s5, 0, v5, s5
	v_add_nc_u32_e32 v35, v35, v53
	v_add_nc_u32_e32 v34, v34, v44
	v_cmp_lt_u64_e64 s5, 2, v[4:5]
	s_delay_alu instid0(VALU_DEP_1) | instskip(NEXT) | instid1(SALU_CYCLE_1)
	s_or_b32 s11, s5, s11
	s_and_not1_b32 exec_lo, exec_lo, s11
	s_cbranch_execz .LBB4_42
.LBB4_36:                               ;   Parent Loop BB4_15 Depth=1
                                        ; =>  This Loop Header: Depth=2
                                        ;       Child Loop BB4_39 Depth 3
                                        ;         Child Loop BB4_41 Depth 4
	s_and_saveexec_b32 s12, s4
	s_cbranch_execz .LBB4_35
; %bb.37:                               ;   in Loop: Header=BB4_36 Depth=2
	v_mov_b32_e32 v36, v35
	v_dual_mov_b32 v6, v10 :: v_dual_mov_b32 v7, v11
	s_mov_b32 s13, 0
	s_set_inst_prefetch_distance 0x1
	s_branch .LBB4_39
	.p2align	6
.LBB4_38:                               ;   in Loop: Header=BB4_39 Depth=3
	s_or_b32 exec_lo, exec_lo, s14
	v_add_co_u32 v6, s5, v6, v14
	s_delay_alu instid0(VALU_DEP_1) | instskip(SKIP_1) | instid1(VALU_DEP_2)
	v_add_co_ci_u32_e64 v7, s5, v7, v15, s5
	v_add_nc_u32_e32 v36, v36, v45
	v_cmp_lt_u64_e64 s5, 3, v[6:7]
	s_delay_alu instid0(VALU_DEP_1) | instskip(NEXT) | instid1(SALU_CYCLE_1)
	s_or_b32 s13, s5, s13
	s_and_not1_b32 exec_lo, exec_lo, s13
	s_cbranch_execz .LBB4_35
.LBB4_39:                               ;   Parent Loop BB4_15 Depth=1
                                        ;     Parent Loop BB4_36 Depth=2
                                        ; =>    This Loop Header: Depth=3
                                        ;         Child Loop BB4_41 Depth 4
	s_and_saveexec_b32 s14, s3
	s_cbranch_execz .LBB4_38
; %bb.40:                               ;   in Loop: Header=BB4_39 Depth=3
	v_mul_lo_u32 v30, v6, 24
	v_mov_b32_e32 v33, v13
	v_dual_mov_b32 v37, 0 :: v_dual_mov_b32 v32, v12
	s_mov_b32 s15, 0
	ds_load_2addr_b64 v[0:3], v30 offset0:128 offset1:129
	ds_load_b64 v[30:31], v30 offset:1040
	.p2align	6
.LBB4_41:                               ;   Parent Loop BB4_15 Depth=1
                                        ;     Parent Loop BB4_36 Depth=2
                                        ;       Parent Loop BB4_39 Depth=3
                                        ; =>      This Inner Loop Header: Depth=4
	v_add_nc_u32_e32 v61, v34, v37
	v_add_co_u32 v32, s5, v32, v16
	s_delay_alu instid0(VALU_DEP_1) | instskip(SKIP_2) | instid1(VALU_DEP_1)
	v_add_co_ci_u32_e64 v33, s5, v33, v17, s5
	ds_load_2addr_b64 v[38:41], v61 offset1:4
	v_cmp_lt_u64_e64 s5, 3, v[32:33]
	s_or_b32 s15, s5, s15
	s_waitcnt lgkmcnt(0)
	v_fma_f64 v[38:39], v[0:1], v[38:39], 0
	s_delay_alu instid0(VALU_DEP_1)
	v_fma_f64 v[38:39], v[2:3], v[40:41], v[38:39]
	ds_load_b64 v[40:41], v61 offset:64
	s_waitcnt lgkmcnt(0)
	v_fma_f64 v[38:39], v[30:31], v[40:41], v[38:39]
	v_add_nc_u32_e32 v40, v36, v37
	v_add_nc_u32_e32 v37, v37, v43
	ds_store_b64 v40, v[38:39]
	s_and_not1_b32 exec_lo, exec_lo, s15
	s_cbranch_execnz .LBB4_41
	s_branch .LBB4_38
.LBB4_42:                               ;   in Loop: Header=BB4_15 Depth=1
	s_or_b32 exec_lo, exec_lo, s6
	s_waitcnt lgkmcnt(0)
	s_barrier
	buffer_gl0_inv
	s_and_saveexec_b32 s11, s0
	s_cbranch_execz .LBB4_51
; %bb.43:                               ;   in Loop: Header=BB4_15 Depth=1
	v_dual_mov_b32 v41, v55 :: v_dual_mov_b32 v4, v26
	v_dual_mov_b32 v5, v27 :: v_dual_mov_b32 v6, v8
	v_mov_b32_e32 v7, v9
	s_mov_b32 s12, 0
	s_branch .LBB4_45
.LBB4_44:                               ;   in Loop: Header=BB4_45 Depth=2
	s_or_b32 exec_lo, exec_lo, s13
	v_add_co_u32 v6, s5, v6, s20
	s_delay_alu instid0(VALU_DEP_1) | instskip(SKIP_1) | instid1(VALU_DEP_1)
	v_add_co_ci_u32_e64 v7, s5, 0, v7, s5
	v_add_co_u32 v4, s6, v4, s10
	v_add_co_ci_u32_e64 v5, s6, 0, v5, s6
	s_delay_alu instid0(VALU_DEP_3) | instskip(SKIP_1) | instid1(VALU_DEP_2)
	v_cmp_lt_u64_e64 s5, 3, v[6:7]
	v_add_nc_u32_e32 v41, v41, v53
	s_or_b32 s12, s5, s12
	s_delay_alu instid0(SALU_CYCLE_1)
	s_and_not1_b32 exec_lo, exec_lo, s12
	s_cbranch_execz .LBB4_51
.LBB4_45:                               ;   Parent Loop BB4_15 Depth=1
                                        ; =>  This Loop Header: Depth=2
                                        ;       Child Loop BB4_48 Depth 3
                                        ;         Child Loop BB4_50 Depth 4
	s_and_saveexec_b32 s13, s4
	s_cbranch_execz .LBB4_44
; %bb.46:                               ;   in Loop: Header=BB4_45 Depth=2
	v_mad_u64_u32 v[30:31], null, v6, 24, 0x400
	v_dual_mov_b32 v61, v51 :: v_dual_mov_b32 v62, v41
	v_dual_mov_b32 v32, v5 :: v_dual_mov_b32 v31, v4
	;; [unrolled: 1-line block ×3, first 2 shown]
	s_mov_b32 s14, 0
	s_branch .LBB4_48
.LBB4_47:                               ;   in Loop: Header=BB4_48 Depth=3
	s_set_inst_prefetch_distance 0x2
	s_or_b32 exec_lo, exec_lo, s15
	v_add_co_u32 v33, s5, v33, v14
	s_delay_alu instid0(VALU_DEP_1) | instskip(SKIP_1) | instid1(VALU_DEP_1)
	v_add_co_ci_u32_e64 v34, s5, v34, v15, s5
	v_add_co_u32 v31, s6, v31, v20
	v_add_co_ci_u32_e64 v32, s6, v32, v21, s6
	s_delay_alu instid0(VALU_DEP_3) | instskip(SKIP_2) | instid1(VALU_DEP_3)
	v_cmp_lt_u64_e64 s5, 3, v[33:34]
	v_add_nc_u32_e32 v62, v62, v45
	v_add_nc_u32_e32 v61, v61, v45
	s_or_b32 s14, s5, s14
	s_delay_alu instid0(SALU_CYCLE_1)
	s_and_not1_b32 exec_lo, exec_lo, s14
	s_cbranch_execz .LBB4_44
.LBB4_48:                               ;   Parent Loop BB4_15 Depth=1
                                        ;     Parent Loop BB4_45 Depth=2
                                        ; =>    This Loop Header: Depth=3
                                        ;         Child Loop BB4_50 Depth 4
	s_and_saveexec_b32 s15, s3
	s_cbranch_execz .LBB4_47
; %bb.49:                               ;   in Loop: Header=BB4_48 Depth=3
	ds_load_2addr_b64 v[0:3], v30 offset1:1
	ds_load_b64 v[35:36], v30 offset:16
	v_dual_mov_b32 v63, 0 :: v_dual_mov_b32 v38, v32
	v_dual_mov_b32 v37, v31 :: v_dual_mov_b32 v40, v13
	v_mov_b32_e32 v39, v12
	s_mov_b32 s16, 0
	s_set_inst_prefetch_distance 0x1
	.p2align	6
.LBB4_50:                               ;   Parent Loop BB4_15 Depth=1
                                        ;     Parent Loop BB4_45 Depth=2
                                        ;       Parent Loop BB4_48 Depth=3
                                        ; =>      This Inner Loop Header: Depth=4
	global_load_b64 v[68:69], v[37:38], off
	v_add_nc_u32_e32 v70, v61, v63
	v_add_co_u32 v39, s5, v39, v16
	s_delay_alu instid0(VALU_DEP_1) | instskip(SKIP_4) | instid1(VALU_DEP_2)
	v_add_co_ci_u32_e64 v40, s5, v40, v17, s5
	ds_load_2addr_b64 v[64:67], v70 offset1:16
	v_add_co_u32 v37, s6, v37, v18
	v_cmp_lt_u64_e64 s5, 3, v[39:40]
	v_add_co_ci_u32_e64 v38, s6, v38, v19, s6
	s_or_b32 s16, s5, s16
	s_waitcnt lgkmcnt(0)
	v_fma_f64 v[64:65], v[0:1], v[64:65], 0
	s_delay_alu instid0(VALU_DEP_1)
	v_fma_f64 v[64:65], v[2:3], v[66:67], v[64:65]
	ds_load_b64 v[66:67], v70 offset:256
	s_waitcnt lgkmcnt(0)
	v_fma_f64 v[64:65], v[35:36], v[66:67], v[64:65]
	v_add_nc_u32_e32 v66, v62, v63
	v_add_nc_u32_e32 v63, v63, v43
	s_waitcnt vmcnt(0)
	s_delay_alu instid0(VALU_DEP_3)
	v_mul_f64 v[64:65], v[68:69], v[64:65]
	ds_store_b64 v66, v[64:65]
	s_and_not1_b32 exec_lo, exec_lo, s16
	s_cbranch_execnz .LBB4_50
	s_branch .LBB4_47
.LBB4_51:                               ;   in Loop: Header=BB4_15 Depth=1
	s_or_b32 exec_lo, exec_lo, s11
	s_waitcnt lgkmcnt(0)
	s_barrier
	buffer_gl0_inv
	s_and_saveexec_b32 s6, s0
	s_cbranch_execz .LBB4_60
; %bb.52:                               ;   in Loop: Header=BB4_15 Depth=1
	v_dual_mov_b32 v36, v56 :: v_dual_mov_b32 v31, v9
	v_mov_b32_e32 v30, v8
	s_mov_b32 s11, 0
	s_branch .LBB4_54
.LBB4_53:                               ;   in Loop: Header=BB4_54 Depth=2
	s_or_b32 exec_lo, exec_lo, s12
	v_add_co_u32 v30, s5, v30, s20
	s_delay_alu instid0(VALU_DEP_1) | instskip(SKIP_1) | instid1(VALU_DEP_2)
	v_add_co_ci_u32_e64 v31, s5, 0, v31, s5
	v_add_nc_u32_e32 v36, v36, v44
	v_cmp_lt_u64_e64 s5, 3, v[30:31]
	s_delay_alu instid0(VALU_DEP_1) | instskip(NEXT) | instid1(SALU_CYCLE_1)
	s_or_b32 s11, s5, s11
	s_and_not1_b32 exec_lo, exec_lo, s11
	s_cbranch_execz .LBB4_60
.LBB4_54:                               ;   Parent Loop BB4_15 Depth=1
                                        ; =>  This Loop Header: Depth=2
                                        ;       Child Loop BB4_57 Depth 3
                                        ;         Child Loop BB4_59 Depth 4
	s_and_saveexec_b32 s12, s4
	s_cbranch_execz .LBB4_53
; %bb.55:                               ;   in Loop: Header=BB4_54 Depth=2
	v_mov_b32_e32 v33, v11
	v_dual_mov_b32 v37, v36 :: v_dual_mov_b32 v32, v10
	s_mov_b32 s13, 0
	s_branch .LBB4_57
.LBB4_56:                               ;   in Loop: Header=BB4_57 Depth=3
	s_or_b32 exec_lo, exec_lo, s14
	v_add_co_u32 v32, s5, v32, v14
	s_delay_alu instid0(VALU_DEP_1) | instskip(SKIP_1) | instid1(VALU_DEP_2)
	v_add_co_ci_u32_e64 v33, s5, v33, v15, s5
	v_add_nc_u32_e32 v37, v37, v22
	v_cmp_lt_u64_e64 s5, 3, v[32:33]
	s_delay_alu instid0(VALU_DEP_1) | instskip(NEXT) | instid1(SALU_CYCLE_1)
	s_or_b32 s13, s5, s13
	s_and_not1_b32 exec_lo, exec_lo, s13
	s_cbranch_execz .LBB4_53
.LBB4_57:                               ;   Parent Loop BB4_15 Depth=1
                                        ;     Parent Loop BB4_54 Depth=2
                                        ; =>    This Loop Header: Depth=3
                                        ;         Child Loop BB4_59 Depth 4
	s_and_saveexec_b32 s14, s2
	s_cbranch_execz .LBB4_56
; %bb.58:                               ;   in Loop: Header=BB4_57 Depth=3
	v_dual_mov_b32 v39, v37 :: v_dual_lshlrev_b32 v0, 5, v32
	v_mov_b32_e32 v38, v57
	v_dual_mov_b32 v35, v13 :: v_dual_mov_b32 v34, v12
	s_delay_alu instid0(VALU_DEP_3)
	v_lshl_add_u32 v4, v30, 7, v0
	s_mov_b32 s15, 0
	ds_load_b128 v[0:3], v4 offset:512
	ds_load_b128 v[4:7], v4 offset:528
	.p2align	6
.LBB4_59:                               ;   Parent Loop BB4_15 Depth=1
                                        ;     Parent Loop BB4_54 Depth=2
                                        ;       Parent Loop BB4_57 Depth=3
                                        ; =>      This Inner Loop Header: Depth=4
	ds_load_b128 v[61:64], v38
	ds_load_b128 v[65:68], v38 offset:16
	v_add_co_u32 v34, s5, v34, v16
	s_delay_alu instid0(VALU_DEP_1) | instskip(SKIP_1) | instid1(VALU_DEP_2)
	v_add_co_ci_u32_e64 v35, s5, v35, v17, s5
	v_add_nc_u32_e32 v38, v38, v58
	v_cmp_lt_u64_e64 s5, 2, v[34:35]
	s_delay_alu instid0(VALU_DEP_1) | instskip(SKIP_2) | instid1(VALU_DEP_1)
	s_or_b32 s15, s5, s15
	s_waitcnt lgkmcnt(1)
	v_fma_f64 v[40:41], v[0:1], v[61:62], 0
	v_fma_f64 v[40:41], v[2:3], v[63:64], v[40:41]
	s_waitcnt lgkmcnt(0)
	s_delay_alu instid0(VALU_DEP_1) | instskip(NEXT) | instid1(VALU_DEP_1)
	v_fma_f64 v[40:41], v[4:5], v[65:66], v[40:41]
	v_fma_f64 v[40:41], v[6:7], v[67:68], v[40:41]
	ds_store_b64 v39, v[40:41]
	v_add_nc_u32_e32 v39, v39, v43
	s_and_not1_b32 exec_lo, exec_lo, s15
	s_cbranch_execnz .LBB4_59
	s_branch .LBB4_56
.LBB4_60:                               ;   in Loop: Header=BB4_15 Depth=1
	s_or_b32 exec_lo, exec_lo, s6
	s_waitcnt lgkmcnt(0)
	s_barrier
	buffer_gl0_inv
	s_and_saveexec_b32 s6, s0
	s_cbranch_execz .LBB4_69
; %bb.61:                               ;   in Loop: Header=BB4_15 Depth=1
	v_dual_mov_b32 v36, v46 :: v_dual_mov_b32 v37, v59
	v_dual_mov_b32 v31, v9 :: v_dual_mov_b32 v30, v8
	s_mov_b32 s11, 0
	s_branch .LBB4_63
.LBB4_62:                               ;   in Loop: Header=BB4_63 Depth=2
	s_or_b32 exec_lo, exec_lo, s12
	v_add_co_u32 v30, s5, v30, s20
	s_delay_alu instid0(VALU_DEP_1) | instskip(SKIP_2) | instid1(VALU_DEP_3)
	v_add_co_ci_u32_e64 v31, s5, 0, v31, s5
	v_add_nc_u32_e32 v37, v37, v42
	v_add_nc_u32_e32 v36, v36, v44
	v_cmp_lt_u64_e64 s5, 3, v[30:31]
	s_delay_alu instid0(VALU_DEP_1) | instskip(NEXT) | instid1(SALU_CYCLE_1)
	s_or_b32 s11, s5, s11
	s_and_not1_b32 exec_lo, exec_lo, s11
	s_cbranch_execz .LBB4_69
.LBB4_63:                               ;   Parent Loop BB4_15 Depth=1
                                        ; =>  This Loop Header: Depth=2
                                        ;       Child Loop BB4_66 Depth 3
                                        ;         Child Loop BB4_68 Depth 4
	s_and_saveexec_b32 s12, s1
	s_cbranch_execz .LBB4_62
; %bb.64:                               ;   in Loop: Header=BB4_63 Depth=2
	v_dual_mov_b32 v38, v37 :: v_dual_mov_b32 v33, v11
	v_mov_b32_e32 v32, v10
	s_mov_b32 s13, 0
	s_branch .LBB4_66
.LBB4_65:                               ;   in Loop: Header=BB4_66 Depth=3
	s_or_b32 exec_lo, exec_lo, s14
	v_add_co_u32 v32, s5, v32, v14
	s_delay_alu instid0(VALU_DEP_1) | instskip(SKIP_1) | instid1(VALU_DEP_2)
	v_add_co_ci_u32_e64 v33, s5, v33, v15, s5
	v_add_nc_u32_e32 v38, v38, v22
	v_cmp_lt_u64_e64 s5, 2, v[32:33]
	s_delay_alu instid0(VALU_DEP_1) | instskip(NEXT) | instid1(SALU_CYCLE_1)
	s_or_b32 s13, s5, s13
	s_and_not1_b32 exec_lo, exec_lo, s13
	s_cbranch_execz .LBB4_62
.LBB4_66:                               ;   Parent Loop BB4_15 Depth=1
                                        ;     Parent Loop BB4_63 Depth=2
                                        ; =>    This Loop Header: Depth=3
                                        ;         Child Loop BB4_68 Depth 4
	s_and_saveexec_b32 s14, s2
	s_cbranch_execz .LBB4_65
; %bb.67:                               ;   in Loop: Header=BB4_66 Depth=3
	v_dual_mov_b32 v39, 0 :: v_dual_lshlrev_b32 v4, 5, v32
	v_dual_mov_b32 v35, v13 :: v_dual_mov_b32 v34, v12
	s_mov_b32 s15, 0
	ds_load_b128 v[0:3], v4 offset:1120
	ds_load_b128 v[4:7], v4 offset:1136
	.p2align	6
.LBB4_68:                               ;   Parent Loop BB4_15 Depth=1
                                        ;     Parent Loop BB4_63 Depth=2
                                        ;       Parent Loop BB4_66 Depth=3
                                        ; =>      This Inner Loop Header: Depth=4
	v_add_nc_u32_e32 v65, v36, v39
	v_add_co_u32 v34, s5, v34, v16
	s_delay_alu instid0(VALU_DEP_1) | instskip(SKIP_2) | instid1(VALU_DEP_1)
	v_add_co_ci_u32_e64 v35, s5, v35, v17, s5
	ds_load_2addr_b64 v[61:64], v65 offset1:3
	v_cmp_lt_u64_e64 s5, 2, v[34:35]
	s_or_b32 s15, s5, s15
	s_waitcnt lgkmcnt(0)
	v_fma_f64 v[40:41], v[0:1], v[61:62], 0
	s_delay_alu instid0(VALU_DEP_1)
	v_fma_f64 v[40:41], v[2:3], v[63:64], v[40:41]
	ds_load_2addr_b64 v[61:64], v65 offset0:6 offset1:9
	s_waitcnt lgkmcnt(0)
	v_fma_f64 v[40:41], v[4:5], v[61:62], v[40:41]
	v_add_nc_u32_e32 v61, v38, v39
	v_add_nc_u32_e32 v39, v39, v43
	s_delay_alu instid0(VALU_DEP_3)
	v_fma_f64 v[40:41], v[6:7], v[63:64], v[40:41]
	ds_store_b64 v61, v[40:41]
	s_and_not1_b32 exec_lo, exec_lo, s15
	s_cbranch_execnz .LBB4_68
	s_branch .LBB4_65
.LBB4_69:                               ;   in Loop: Header=BB4_15 Depth=1
	s_or_b32 exec_lo, exec_lo, s6
	s_waitcnt lgkmcnt(0)
	s_barrier
	buffer_gl0_inv
	s_and_saveexec_b32 s11, vcc_lo
	s_cbranch_execz .LBB4_14
; %bb.70:                               ;   in Loop: Header=BB4_15 Depth=1
	v_dual_mov_b32 v31, v29 :: v_dual_mov_b32 v30, v28
	v_dual_mov_b32 v33, v9 :: v_dual_mov_b32 v32, v8
	s_mov_b32 s12, 0
	s_branch .LBB4_72
.LBB4_71:                               ;   in Loop: Header=BB4_72 Depth=2
	s_or_b32 exec_lo, exec_lo, s13
	v_add_co_u32 v32, s5, v32, s20
	s_delay_alu instid0(VALU_DEP_1) | instskip(SKIP_1) | instid1(VALU_DEP_1)
	v_add_co_ci_u32_e64 v33, s5, 0, v33, s5
	v_add_co_u32 v30, s6, v30, s7
	v_add_co_ci_u32_e64 v31, s6, 0, v31, s6
	s_delay_alu instid0(VALU_DEP_3) | instskip(NEXT) | instid1(VALU_DEP_1)
	v_cmp_lt_u64_e64 s5, 2, v[32:33]
	s_or_b32 s12, s5, s12
	s_delay_alu instid0(SALU_CYCLE_1)
	s_and_not1_b32 exec_lo, exec_lo, s12
	s_cbranch_execz .LBB4_14
.LBB4_72:                               ;   Parent Loop BB4_15 Depth=1
                                        ; =>  This Loop Header: Depth=2
                                        ;       Child Loop BB4_75 Depth 3
                                        ;         Child Loop BB4_77 Depth 4
	s_and_saveexec_b32 s13, s1
	s_cbranch_execz .LBB4_71
; %bb.73:                               ;   in Loop: Header=BB4_72 Depth=2
	v_dual_mov_b32 v62, v60 :: v_dual_mov_b32 v35, v31
	v_dual_mov_b32 v34, v30 :: v_dual_mov_b32 v37, v11
	v_lshl_add_u32 v61, v32, 5, 0x460
	v_mov_b32_e32 v36, v10
	s_mov_b32 s14, 0
	s_branch .LBB4_75
.LBB4_74:                               ;   in Loop: Header=BB4_75 Depth=3
	s_or_b32 exec_lo, exec_lo, s15
	v_add_co_u32 v36, s5, v36, v14
	s_delay_alu instid0(VALU_DEP_1) | instskip(SKIP_1) | instid1(VALU_DEP_1)
	v_add_co_ci_u32_e64 v37, s5, v37, v15, s5
	v_add_co_u32 v34, s6, v34, v22
	v_add_co_ci_u32_e64 v35, s6, v35, v49, s6
	s_delay_alu instid0(VALU_DEP_3) | instskip(SKIP_1) | instid1(VALU_DEP_2)
	v_cmp_lt_u64_e64 s5, 2, v[36:37]
	v_add_nc_u32_e32 v62, v62, v22
	s_or_b32 s14, s5, s14
	s_delay_alu instid0(SALU_CYCLE_1)
	s_and_not1_b32 exec_lo, exec_lo, s14
	s_cbranch_execz .LBB4_71
.LBB4_75:                               ;   Parent Loop BB4_15 Depth=1
                                        ;     Parent Loop BB4_72 Depth=2
                                        ; =>    This Loop Header: Depth=3
                                        ;         Child Loop BB4_77 Depth 4
	s_and_saveexec_b32 s15, s2
	s_cbranch_execz .LBB4_74
; %bb.76:                               ;   in Loop: Header=BB4_75 Depth=3
	ds_load_b128 v[0:3], v61
	ds_load_b128 v[4:7], v61 offset:16
	v_mov_b32_e32 v41, v13
	v_dual_mov_b32 v63, v62 :: v_dual_mov_b32 v40, v12
	v_dual_mov_b32 v39, v35 :: v_dual_mov_b32 v38, v34
	s_mov_b32 s16, 0
	.p2align	6
.LBB4_77:                               ;   Parent Loop BB4_15 Depth=1
                                        ;     Parent Loop BB4_72 Depth=2
                                        ;       Parent Loop BB4_75 Depth=3
                                        ; =>      This Inner Loop Header: Depth=4
	ds_load_2addr_b64 v[64:67], v63 offset1:9
	v_add_co_u32 v40, s5, v40, v16
	s_delay_alu instid0(VALU_DEP_1) | instskip(NEXT) | instid1(VALU_DEP_1)
	v_add_co_ci_u32_e64 v41, s5, v41, v17, s5
	v_cmp_lt_u64_e64 s5, 2, v[40:41]
	s_delay_alu instid0(VALU_DEP_1) | instskip(SKIP_2) | instid1(VALU_DEP_1)
	s_or_b32 s16, s5, s16
	s_waitcnt lgkmcnt(0)
	v_fma_f64 v[64:65], v[64:65], v[0:1], 0
	v_fma_f64 v[68:69], v[66:67], v[2:3], v[64:65]
	ds_load_2addr_b64 v[64:67], v63 offset0:18 offset1:27
	v_add_nc_u32_e32 v63, v63, v43
	s_waitcnt lgkmcnt(0)
	v_fma_f64 v[64:65], v[64:65], v[4:5], v[68:69]
	s_delay_alu instid0(VALU_DEP_1) | instskip(SKIP_2) | instid1(VALU_DEP_1)
	v_fma_f64 v[64:65], v[66:67], v[6:7], v[64:65]
	global_store_b64 v[38:39], v[64:65], off
	v_add_co_u32 v38, s6, v38, v18
	v_add_co_ci_u32_e64 v39, s6, v39, v19, s6
	s_and_not1_b32 exec_lo, exec_lo, s16
	s_cbranch_execnz .LBB4_77
	s_branch .LBB4_74
.LBB4_78:
	s_endpgm
	.section	.rodata,"a",@progbits
	.p2align	6, 0x0
	.amdhsa_kernel _ZN4RAJA34launch_new_reduce_global_fcn_fixedIZN8rajaperf4apps11MASSVEC3DPA17runHipVariantImplILm64ELm2EEEvNS1_9VariantIDEEUlNS_14LaunchContextTINS_3hip33LaunchContextIndicesAndDimsPolicyINS7_14IndicesAndDimsILb0ELb0ELb1ELb0EEEEEEEE_Li64ENS_4expt15ForallParamPackIJEEEEEvT_T1_
		.amdhsa_group_segment_fixed_size 1216
		.amdhsa_private_segment_fixed_size 0
		.amdhsa_kernarg_size 304
		.amdhsa_user_sgpr_count 15
		.amdhsa_user_sgpr_dispatch_ptr 0
		.amdhsa_user_sgpr_queue_ptr 0
		.amdhsa_user_sgpr_kernarg_segment_ptr 1
		.amdhsa_user_sgpr_dispatch_id 0
		.amdhsa_user_sgpr_private_segment_size 0
		.amdhsa_wavefront_size32 1
		.amdhsa_uses_dynamic_stack 0
		.amdhsa_enable_private_segment 0
		.amdhsa_system_sgpr_workgroup_id_x 1
		.amdhsa_system_sgpr_workgroup_id_y 0
		.amdhsa_system_sgpr_workgroup_id_z 0
		.amdhsa_system_sgpr_workgroup_info 0
		.amdhsa_system_vgpr_workitem_id 2
		.amdhsa_next_free_vgpr 71
		.amdhsa_next_free_sgpr 27
		.amdhsa_reserve_vcc 1
		.amdhsa_float_round_mode_32 0
		.amdhsa_float_round_mode_16_64 0
		.amdhsa_float_denorm_mode_32 3
		.amdhsa_float_denorm_mode_16_64 3
		.amdhsa_dx10_clamp 1
		.amdhsa_ieee_mode 1
		.amdhsa_fp16_overflow 0
		.amdhsa_workgroup_processor_mode 1
		.amdhsa_memory_ordered 1
		.amdhsa_forward_progress 0
		.amdhsa_shared_vgpr_count 0
		.amdhsa_exception_fp_ieee_invalid_op 0
		.amdhsa_exception_fp_denorm_src 0
		.amdhsa_exception_fp_ieee_div_zero 0
		.amdhsa_exception_fp_ieee_overflow 0
		.amdhsa_exception_fp_ieee_underflow 0
		.amdhsa_exception_fp_ieee_inexact 0
		.amdhsa_exception_int_div_zero 0
	.end_amdhsa_kernel
	.section	.text._ZN4RAJA34launch_new_reduce_global_fcn_fixedIZN8rajaperf4apps11MASSVEC3DPA17runHipVariantImplILm64ELm2EEEvNS1_9VariantIDEEUlNS_14LaunchContextTINS_3hip33LaunchContextIndicesAndDimsPolicyINS7_14IndicesAndDimsILb0ELb0ELb1ELb0EEEEEEEE_Li64ENS_4expt15ForallParamPackIJEEEEEvT_T1_,"axG",@progbits,_ZN4RAJA34launch_new_reduce_global_fcn_fixedIZN8rajaperf4apps11MASSVEC3DPA17runHipVariantImplILm64ELm2EEEvNS1_9VariantIDEEUlNS_14LaunchContextTINS_3hip33LaunchContextIndicesAndDimsPolicyINS7_14IndicesAndDimsILb0ELb0ELb1ELb0EEEEEEEE_Li64ENS_4expt15ForallParamPackIJEEEEEvT_T1_,comdat
.Lfunc_end4:
	.size	_ZN4RAJA34launch_new_reduce_global_fcn_fixedIZN8rajaperf4apps11MASSVEC3DPA17runHipVariantImplILm64ELm2EEEvNS1_9VariantIDEEUlNS_14LaunchContextTINS_3hip33LaunchContextIndicesAndDimsPolicyINS7_14IndicesAndDimsILb0ELb0ELb1ELb0EEEEEEEE_Li64ENS_4expt15ForallParamPackIJEEEEEvT_T1_, .Lfunc_end4-_ZN4RAJA34launch_new_reduce_global_fcn_fixedIZN8rajaperf4apps11MASSVEC3DPA17runHipVariantImplILm64ELm2EEEvNS1_9VariantIDEEUlNS_14LaunchContextTINS_3hip33LaunchContextIndicesAndDimsPolicyINS7_14IndicesAndDimsILb0ELb0ELb1ELb0EEEEEEEE_Li64ENS_4expt15ForallParamPackIJEEEEEvT_T1_
                                        ; -- End function
	.section	.AMDGPU.csdata,"",@progbits
; Kernel info:
; codeLenInByte = 3904
; NumSgprs: 29
; NumVgprs: 71
; ScratchSize: 0
; MemoryBound: 0
; FloatMode: 240
; IeeeMode: 1
; LDSByteSize: 1216 bytes/workgroup (compile time only)
; SGPRBlocks: 3
; VGPRBlocks: 8
; NumSGPRsForWavesPerEU: 29
; NumVGPRsForWavesPerEU: 71
; Occupancy: 16
; WaveLimiterHint : 0
; COMPUTE_PGM_RSRC2:SCRATCH_EN: 0
; COMPUTE_PGM_RSRC2:USER_SGPR: 15
; COMPUTE_PGM_RSRC2:TRAP_HANDLER: 0
; COMPUTE_PGM_RSRC2:TGID_X_EN: 1
; COMPUTE_PGM_RSRC2:TGID_Y_EN: 0
; COMPUTE_PGM_RSRC2:TGID_Z_EN: 0
; COMPUTE_PGM_RSRC2:TIDIG_COMP_CNT: 2
	.text
	.p2alignl 7, 3214868480
	.fill 96, 4, 3214868480
	.type	__hip_cuid_9ceec177b56a122a,@object ; @__hip_cuid_9ceec177b56a122a
	.section	.bss,"aw",@nobits
	.globl	__hip_cuid_9ceec177b56a122a
__hip_cuid_9ceec177b56a122a:
	.byte	0                               ; 0x0
	.size	__hip_cuid_9ceec177b56a122a, 1

	.ident	"AMD clang version 19.0.0git (https://github.com/RadeonOpenCompute/llvm-project roc-6.4.0 25133 c7fe45cf4b819c5991fe208aaa96edf142730f1d)"
	.section	".note.GNU-stack","",@progbits
	.addrsig
	.addrsig_sym __hip_cuid_9ceec177b56a122a
	.amdgpu_metadata
---
amdhsa.kernels:
  - .args:
      - .address_space:  global
        .offset:         0
        .size:           8
        .value_kind:     global_buffer
      - .address_space:  global
        .offset:         8
        .size:           8
        .value_kind:     global_buffer
      - .address_space:  global
        .offset:         16
        .size:           8
        .value_kind:     global_buffer
      - .address_space:  global
        .offset:         24
        .size:           8
        .value_kind:     global_buffer
      - .offset:         32
        .size:           4
        .value_kind:     hidden_block_count_x
      - .offset:         36
        .size:           4
        .value_kind:     hidden_block_count_y
      - .offset:         40
        .size:           4
        .value_kind:     hidden_block_count_z
      - .offset:         44
        .size:           2
        .value_kind:     hidden_group_size_x
      - .offset:         46
        .size:           2
        .value_kind:     hidden_group_size_y
      - .offset:         48
        .size:           2
        .value_kind:     hidden_group_size_z
      - .offset:         50
        .size:           2
        .value_kind:     hidden_remainder_x
      - .offset:         52
        .size:           2
        .value_kind:     hidden_remainder_y
      - .offset:         54
        .size:           2
        .value_kind:     hidden_remainder_z
      - .offset:         72
        .size:           8
        .value_kind:     hidden_global_offset_x
      - .offset:         80
        .size:           8
        .value_kind:     hidden_global_offset_y
      - .offset:         88
        .size:           8
        .value_kind:     hidden_global_offset_z
      - .offset:         96
        .size:           2
        .value_kind:     hidden_grid_dims
    .group_segment_fixed_size: 1216
    .kernarg_segment_align: 8
    .kernarg_segment_size: 288
    .language:       OpenCL C
    .language_version:
      - 2
      - 0
    .max_flat_workgroup_size: 64
    .name:           _ZN8rajaperf4apps15MassVec3DPALoopILm64EEEvPdS2_S2_S2_
    .private_segment_fixed_size: 0
    .sgpr_count:     26
    .sgpr_spill_count: 0
    .symbol:         _ZN8rajaperf4apps15MassVec3DPALoopILm64EEEvPdS2_S2_S2_.kd
    .uniform_work_group_size: 1
    .uses_dynamic_stack: false
    .vgpr_count:     53
    .vgpr_spill_count: 0
    .wavefront_size: 32
    .workgroup_processor_mode: 1
  - .args:
      - .offset:         0
        .size:           40
        .value_kind:     by_value
      - .offset:         40
        .size:           1
        .value_kind:     by_value
      - .offset:         48
        .size:           4
        .value_kind:     hidden_block_count_x
      - .offset:         52
        .size:           4
        .value_kind:     hidden_block_count_y
      - .offset:         56
        .size:           4
        .value_kind:     hidden_block_count_z
      - .offset:         60
        .size:           2
        .value_kind:     hidden_group_size_x
      - .offset:         62
        .size:           2
        .value_kind:     hidden_group_size_y
      - .offset:         64
        .size:           2
        .value_kind:     hidden_group_size_z
      - .offset:         66
        .size:           2
        .value_kind:     hidden_remainder_x
      - .offset:         68
        .size:           2
        .value_kind:     hidden_remainder_y
      - .offset:         70
        .size:           2
        .value_kind:     hidden_remainder_z
      - .offset:         88
        .size:           8
        .value_kind:     hidden_global_offset_x
      - .offset:         96
        .size:           8
        .value_kind:     hidden_global_offset_y
      - .offset:         104
        .size:           8
        .value_kind:     hidden_global_offset_z
      - .offset:         112
        .size:           2
        .value_kind:     hidden_grid_dims
    .group_segment_fixed_size: 1216
    .kernarg_segment_align: 8
    .kernarg_segment_size: 304
    .language:       OpenCL C
    .language_version:
      - 2
      - 0
    .max_flat_workgroup_size: 64
    .name:           _ZN4RAJA34launch_new_reduce_global_fcn_fixedIZN8rajaperf4apps11MASSVEC3DPA17runHipVariantImplILm64ELm0EEEvNS1_9VariantIDEEUlNS_14LaunchContextTINS_3hip33LaunchContextIndicesAndDimsPolicyINS7_14IndicesAndDimsILb0ELb0ELb0ELb0EEEEEEEE_Li64ENS_4expt15ForallParamPackIJEEEEEvT_T1_
    .private_segment_fixed_size: 0
    .sgpr_count:     26
    .sgpr_spill_count: 0
    .symbol:         _ZN4RAJA34launch_new_reduce_global_fcn_fixedIZN8rajaperf4apps11MASSVEC3DPA17runHipVariantImplILm64ELm0EEEvNS1_9VariantIDEEUlNS_14LaunchContextTINS_3hip33LaunchContextIndicesAndDimsPolicyINS7_14IndicesAndDimsILb0ELb0ELb0ELb0EEEEEEEE_Li64ENS_4expt15ForallParamPackIJEEEEEvT_T1_.kd
    .uniform_work_group_size: 1
    .uses_dynamic_stack: false
    .vgpr_count:     61
    .vgpr_spill_count: 0
    .wavefront_size: 32
    .workgroup_processor_mode: 1
  - .args:
      - .address_space:  global
        .offset:         0
        .size:           8
        .value_kind:     global_buffer
      - .address_space:  global
        .offset:         8
        .size:           8
        .value_kind:     global_buffer
      - .address_space:  global
        .offset:         16
        .size:           8
        .value_kind:     global_buffer
      - .address_space:  global
        .offset:         24
        .size:           8
        .value_kind:     global_buffer
    .group_segment_fixed_size: 1216
    .kernarg_segment_align: 8
    .kernarg_segment_size: 32
    .language:       OpenCL C
    .language_version:
      - 2
      - 0
    .max_flat_workgroup_size: 64
    .name:           _ZN8rajaperf4apps17MassVec3DPADirectILm64EEEvPdS2_S2_S2_
    .private_segment_fixed_size: 0
    .sgpr_count:     18
    .sgpr_spill_count: 0
    .symbol:         _ZN8rajaperf4apps17MassVec3DPADirectILm64EEEvPdS2_S2_S2_.kd
    .uniform_work_group_size: 1
    .uses_dynamic_stack: false
    .vgpr_count:     43
    .vgpr_spill_count: 0
    .wavefront_size: 32
    .workgroup_processor_mode: 1
  - .args:
      - .offset:         0
        .size:           40
        .value_kind:     by_value
      - .offset:         40
        .size:           1
        .value_kind:     by_value
    .group_segment_fixed_size: 1216
    .kernarg_segment_align: 8
    .kernarg_segment_size: 44
    .language:       OpenCL C
    .language_version:
      - 2
      - 0
    .max_flat_workgroup_size: 64
    .name:           _ZN4RAJA34launch_new_reduce_global_fcn_fixedIZN8rajaperf4apps11MASSVEC3DPA17runHipVariantImplILm64ELm1EEEvNS1_9VariantIDEEUlNS_14LaunchContextTINS_3hip33LaunchContextIndicesAndDimsPolicyINS7_14IndicesAndDimsILb0ELb0ELb0ELb0EEEEEEEE_Li64ENS_4expt15ForallParamPackIJEEEEEvT_T1_
    .private_segment_fixed_size: 0
    .sgpr_count:     18
    .sgpr_spill_count: 0
    .symbol:         _ZN4RAJA34launch_new_reduce_global_fcn_fixedIZN8rajaperf4apps11MASSVEC3DPA17runHipVariantImplILm64ELm1EEEvNS1_9VariantIDEEUlNS_14LaunchContextTINS_3hip33LaunchContextIndicesAndDimsPolicyINS7_14IndicesAndDimsILb0ELb0ELb0ELb0EEEEEEEE_Li64ENS_4expt15ForallParamPackIJEEEEEvT_T1_.kd
    .uniform_work_group_size: 1
    .uses_dynamic_stack: false
    .vgpr_count:     44
    .vgpr_spill_count: 0
    .wavefront_size: 32
    .workgroup_processor_mode: 1
  - .args:
      - .offset:         0
        .size:           40
        .value_kind:     by_value
      - .offset:         40
        .size:           1
        .value_kind:     by_value
      - .offset:         48
        .size:           4
        .value_kind:     hidden_block_count_x
      - .offset:         52
        .size:           4
        .value_kind:     hidden_block_count_y
      - .offset:         56
        .size:           4
        .value_kind:     hidden_block_count_z
      - .offset:         60
        .size:           2
        .value_kind:     hidden_group_size_x
      - .offset:         62
        .size:           2
        .value_kind:     hidden_group_size_y
      - .offset:         64
        .size:           2
        .value_kind:     hidden_group_size_z
      - .offset:         66
        .size:           2
        .value_kind:     hidden_remainder_x
      - .offset:         68
        .size:           2
        .value_kind:     hidden_remainder_y
      - .offset:         70
        .size:           2
        .value_kind:     hidden_remainder_z
      - .offset:         88
        .size:           8
        .value_kind:     hidden_global_offset_x
      - .offset:         96
        .size:           8
        .value_kind:     hidden_global_offset_y
      - .offset:         104
        .size:           8
        .value_kind:     hidden_global_offset_z
      - .offset:         112
        .size:           2
        .value_kind:     hidden_grid_dims
    .group_segment_fixed_size: 1216
    .kernarg_segment_align: 8
    .kernarg_segment_size: 304
    .language:       OpenCL C
    .language_version:
      - 2
      - 0
    .max_flat_workgroup_size: 64
    .name:           _ZN4RAJA34launch_new_reduce_global_fcn_fixedIZN8rajaperf4apps11MASSVEC3DPA17runHipVariantImplILm64ELm2EEEvNS1_9VariantIDEEUlNS_14LaunchContextTINS_3hip33LaunchContextIndicesAndDimsPolicyINS7_14IndicesAndDimsILb0ELb0ELb1ELb0EEEEEEEE_Li64ENS_4expt15ForallParamPackIJEEEEEvT_T1_
    .private_segment_fixed_size: 0
    .sgpr_count:     29
    .sgpr_spill_count: 0
    .symbol:         _ZN4RAJA34launch_new_reduce_global_fcn_fixedIZN8rajaperf4apps11MASSVEC3DPA17runHipVariantImplILm64ELm2EEEvNS1_9VariantIDEEUlNS_14LaunchContextTINS_3hip33LaunchContextIndicesAndDimsPolicyINS7_14IndicesAndDimsILb0ELb0ELb1ELb0EEEEEEEE_Li64ENS_4expt15ForallParamPackIJEEEEEvT_T1_.kd
    .uniform_work_group_size: 1
    .uses_dynamic_stack: false
    .vgpr_count:     71
    .vgpr_spill_count: 0
    .wavefront_size: 32
    .workgroup_processor_mode: 1
amdhsa.target:   amdgcn-amd-amdhsa--gfx1100
amdhsa.version:
  - 1
  - 2
...

	.end_amdgpu_metadata
